;; amdgpu-corpus repo=ROCm/rocFFT kind=compiled arch=gfx1201 opt=O3
	.text
	.amdgcn_target "amdgcn-amd-amdhsa--gfx1201"
	.amdhsa_code_object_version 6
	.protected	fft_rtc_fwd_len3840_factors_10_6_2_2_2_2_2_2_wgs_128_tpt_128_halfLds_sp_op_CI_CI_unitstride_sbrr_C2R_dirReg ; -- Begin function fft_rtc_fwd_len3840_factors_10_6_2_2_2_2_2_2_wgs_128_tpt_128_halfLds_sp_op_CI_CI_unitstride_sbrr_C2R_dirReg
	.globl	fft_rtc_fwd_len3840_factors_10_6_2_2_2_2_2_2_wgs_128_tpt_128_halfLds_sp_op_CI_CI_unitstride_sbrr_C2R_dirReg
	.p2align	8
	.type	fft_rtc_fwd_len3840_factors_10_6_2_2_2_2_2_2_wgs_128_tpt_128_halfLds_sp_op_CI_CI_unitstride_sbrr_C2R_dirReg,@function
fft_rtc_fwd_len3840_factors_10_6_2_2_2_2_2_2_wgs_128_tpt_128_halfLds_sp_op_CI_CI_unitstride_sbrr_C2R_dirReg: ; @fft_rtc_fwd_len3840_factors_10_6_2_2_2_2_2_2_wgs_128_tpt_128_halfLds_sp_op_CI_CI_unitstride_sbrr_C2R_dirReg
; %bb.0:
	s_clause 0x2
	s_load_b128 s[8:11], s[0:1], 0x0
	s_load_b128 s[4:7], s[0:1], 0x58
	;; [unrolled: 1-line block ×3, first 2 shown]
	v_mov_b32_e32 v3, 0
	v_mov_b32_e32 v1, 0
	v_dual_mov_b32 v2, 0 :: v_dual_mov_b32 v5, ttmp9
	s_mov_b32 s3, 0
	s_delay_alu instid0(VALU_DEP_3) | instskip(SKIP_2) | instid1(VALU_DEP_1)
	v_mov_b32_e32 v6, v3
	s_wait_kmcnt 0x0
	v_cmp_lt_u64_e64 s2, s[10:11], 2
	s_and_b32 vcc_lo, exec_lo, s2
	s_cbranch_vccnz .LBB0_8
; %bb.1:
	s_load_b64 s[20:21], s[0:1], 0x10
	v_mov_b32_e32 v1, 0
	v_mov_b32_e32 v2, 0
	s_add_nc_u64 s[16:17], s[14:15], 8
	s_add_nc_u64 s[18:19], s[12:13], 8
	s_mov_b64 s[22:23], 1
	s_delay_alu instid0(VALU_DEP_1)
	v_dual_mov_b32 v42, v2 :: v_dual_mov_b32 v41, v1
	s_wait_kmcnt 0x0
	s_add_nc_u64 s[20:21], s[20:21], 8
.LBB0_2:                                ; =>This Inner Loop Header: Depth=1
	s_load_b64 s[24:25], s[20:21], 0x0
                                        ; implicit-def: $vgpr46_vgpr47
	s_mov_b32 s2, exec_lo
	s_wait_kmcnt 0x0
	v_or_b32_e32 v4, s25, v6
	s_delay_alu instid0(VALU_DEP_1)
	v_cmpx_ne_u64_e32 0, v[3:4]
	s_wait_alu 0xfffe
	s_xor_b32 s26, exec_lo, s2
	s_cbranch_execz .LBB0_4
; %bb.3:                                ;   in Loop: Header=BB0_2 Depth=1
	s_cvt_f32_u32 s2, s24
	s_cvt_f32_u32 s27, s25
	s_sub_nc_u64 s[30:31], 0, s[24:25]
	s_wait_alu 0xfffe
	s_delay_alu instid0(SALU_CYCLE_1) | instskip(SKIP_1) | instid1(SALU_CYCLE_2)
	s_fmamk_f32 s2, s27, 0x4f800000, s2
	s_wait_alu 0xfffe
	v_s_rcp_f32 s2, s2
	s_delay_alu instid0(TRANS32_DEP_1) | instskip(SKIP_1) | instid1(SALU_CYCLE_2)
	s_mul_f32 s2, s2, 0x5f7ffffc
	s_wait_alu 0xfffe
	s_mul_f32 s27, s2, 0x2f800000
	s_wait_alu 0xfffe
	s_delay_alu instid0(SALU_CYCLE_2) | instskip(SKIP_1) | instid1(SALU_CYCLE_2)
	s_trunc_f32 s27, s27
	s_wait_alu 0xfffe
	s_fmamk_f32 s2, s27, 0xcf800000, s2
	s_cvt_u32_f32 s29, s27
	s_wait_alu 0xfffe
	s_delay_alu instid0(SALU_CYCLE_1) | instskip(SKIP_1) | instid1(SALU_CYCLE_2)
	s_cvt_u32_f32 s28, s2
	s_wait_alu 0xfffe
	s_mul_u64 s[34:35], s[30:31], s[28:29]
	s_wait_alu 0xfffe
	s_mul_hi_u32 s37, s28, s35
	s_mul_i32 s36, s28, s35
	s_mul_hi_u32 s2, s28, s34
	s_mul_i32 s33, s29, s34
	s_wait_alu 0xfffe
	s_add_nc_u64 s[36:37], s[2:3], s[36:37]
	s_mul_hi_u32 s27, s29, s34
	s_mul_hi_u32 s38, s29, s35
	s_add_co_u32 s2, s36, s33
	s_wait_alu 0xfffe
	s_add_co_ci_u32 s2, s37, s27
	s_mul_i32 s34, s29, s35
	s_add_co_ci_u32 s35, s38, 0
	s_wait_alu 0xfffe
	s_add_nc_u64 s[34:35], s[2:3], s[34:35]
	s_wait_alu 0xfffe
	v_add_co_u32 v4, s2, s28, s34
	s_delay_alu instid0(VALU_DEP_1) | instskip(SKIP_1) | instid1(VALU_DEP_1)
	s_cmp_lg_u32 s2, 0
	s_add_co_ci_u32 s29, s29, s35
	v_readfirstlane_b32 s28, v4
	s_wait_alu 0xfffe
	s_delay_alu instid0(VALU_DEP_1)
	s_mul_u64 s[30:31], s[30:31], s[28:29]
	s_wait_alu 0xfffe
	s_mul_hi_u32 s35, s28, s31
	s_mul_i32 s34, s28, s31
	s_mul_hi_u32 s2, s28, s30
	s_mul_i32 s33, s29, s30
	s_wait_alu 0xfffe
	s_add_nc_u64 s[34:35], s[2:3], s[34:35]
	s_mul_hi_u32 s27, s29, s30
	s_mul_hi_u32 s28, s29, s31
	s_wait_alu 0xfffe
	s_add_co_u32 s2, s34, s33
	s_add_co_ci_u32 s2, s35, s27
	s_mul_i32 s30, s29, s31
	s_add_co_ci_u32 s31, s28, 0
	s_wait_alu 0xfffe
	s_add_nc_u64 s[30:31], s[2:3], s[30:31]
	s_wait_alu 0xfffe
	v_add_co_u32 v4, s2, v4, s30
	s_delay_alu instid0(VALU_DEP_1) | instskip(SKIP_1) | instid1(VALU_DEP_1)
	s_cmp_lg_u32 s2, 0
	s_add_co_ci_u32 s2, s29, s31
	v_mul_hi_u32 v13, v5, v4
	s_wait_alu 0xfffe
	v_mad_co_u64_u32 v[7:8], null, v5, s2, 0
	v_mad_co_u64_u32 v[9:10], null, v6, v4, 0
	;; [unrolled: 1-line block ×3, first 2 shown]
	s_delay_alu instid0(VALU_DEP_3) | instskip(SKIP_1) | instid1(VALU_DEP_4)
	v_add_co_u32 v4, vcc_lo, v13, v7
	s_wait_alu 0xfffd
	v_add_co_ci_u32_e32 v7, vcc_lo, 0, v8, vcc_lo
	s_delay_alu instid0(VALU_DEP_2) | instskip(SKIP_1) | instid1(VALU_DEP_2)
	v_add_co_u32 v4, vcc_lo, v4, v9
	s_wait_alu 0xfffd
	v_add_co_ci_u32_e32 v4, vcc_lo, v7, v10, vcc_lo
	s_wait_alu 0xfffd
	v_add_co_ci_u32_e32 v7, vcc_lo, 0, v12, vcc_lo
	s_delay_alu instid0(VALU_DEP_2) | instskip(SKIP_1) | instid1(VALU_DEP_2)
	v_add_co_u32 v4, vcc_lo, v4, v11
	s_wait_alu 0xfffd
	v_add_co_ci_u32_e32 v9, vcc_lo, 0, v7, vcc_lo
	s_delay_alu instid0(VALU_DEP_2) | instskip(SKIP_1) | instid1(VALU_DEP_3)
	v_mul_lo_u32 v10, s25, v4
	v_mad_co_u64_u32 v[7:8], null, s24, v4, 0
	v_mul_lo_u32 v11, s24, v9
	s_delay_alu instid0(VALU_DEP_2) | instskip(NEXT) | instid1(VALU_DEP_2)
	v_sub_co_u32 v7, vcc_lo, v5, v7
	v_add3_u32 v8, v8, v11, v10
	s_delay_alu instid0(VALU_DEP_1) | instskip(SKIP_1) | instid1(VALU_DEP_1)
	v_sub_nc_u32_e32 v10, v6, v8
	s_wait_alu 0xfffd
	v_subrev_co_ci_u32_e64 v10, s2, s25, v10, vcc_lo
	v_add_co_u32 v11, s2, v4, 2
	s_wait_alu 0xf1ff
	v_add_co_ci_u32_e64 v12, s2, 0, v9, s2
	v_sub_co_u32 v13, s2, v7, s24
	v_sub_co_ci_u32_e32 v8, vcc_lo, v6, v8, vcc_lo
	s_wait_alu 0xf1ff
	v_subrev_co_ci_u32_e64 v10, s2, 0, v10, s2
	s_delay_alu instid0(VALU_DEP_3) | instskip(NEXT) | instid1(VALU_DEP_3)
	v_cmp_le_u32_e32 vcc_lo, s24, v13
	v_cmp_eq_u32_e64 s2, s25, v8
	s_wait_alu 0xfffd
	v_cndmask_b32_e64 v13, 0, -1, vcc_lo
	v_cmp_le_u32_e32 vcc_lo, s25, v10
	s_wait_alu 0xfffd
	v_cndmask_b32_e64 v14, 0, -1, vcc_lo
	v_cmp_le_u32_e32 vcc_lo, s24, v7
	;; [unrolled: 3-line block ×3, first 2 shown]
	s_wait_alu 0xfffd
	v_cndmask_b32_e64 v15, 0, -1, vcc_lo
	v_cmp_eq_u32_e32 vcc_lo, s25, v10
	s_wait_alu 0xf1ff
	s_delay_alu instid0(VALU_DEP_2)
	v_cndmask_b32_e64 v7, v15, v7, s2
	s_wait_alu 0xfffd
	v_cndmask_b32_e32 v10, v14, v13, vcc_lo
	v_add_co_u32 v13, vcc_lo, v4, 1
	s_wait_alu 0xfffd
	v_add_co_ci_u32_e32 v14, vcc_lo, 0, v9, vcc_lo
	s_delay_alu instid0(VALU_DEP_3) | instskip(SKIP_1) | instid1(VALU_DEP_2)
	v_cmp_ne_u32_e32 vcc_lo, 0, v10
	s_wait_alu 0xfffd
	v_cndmask_b32_e32 v8, v14, v12, vcc_lo
	v_cndmask_b32_e32 v10, v13, v11, vcc_lo
	v_cmp_ne_u32_e32 vcc_lo, 0, v7
	s_wait_alu 0xfffd
	s_delay_alu instid0(VALU_DEP_2)
	v_dual_cndmask_b32 v47, v9, v8 :: v_dual_cndmask_b32 v46, v4, v10
.LBB0_4:                                ;   in Loop: Header=BB0_2 Depth=1
	s_wait_alu 0xfffe
	s_and_not1_saveexec_b32 s2, s26
	s_cbranch_execz .LBB0_6
; %bb.5:                                ;   in Loop: Header=BB0_2 Depth=1
	v_cvt_f32_u32_e32 v4, s24
	s_sub_co_i32 s26, 0, s24
	v_mov_b32_e32 v47, v3
	s_delay_alu instid0(VALU_DEP_2) | instskip(NEXT) | instid1(TRANS32_DEP_1)
	v_rcp_iflag_f32_e32 v4, v4
	v_mul_f32_e32 v4, 0x4f7ffffe, v4
	s_delay_alu instid0(VALU_DEP_1) | instskip(SKIP_1) | instid1(VALU_DEP_1)
	v_cvt_u32_f32_e32 v4, v4
	s_wait_alu 0xfffe
	v_mul_lo_u32 v7, s26, v4
	s_delay_alu instid0(VALU_DEP_1) | instskip(NEXT) | instid1(VALU_DEP_1)
	v_mul_hi_u32 v7, v4, v7
	v_add_nc_u32_e32 v4, v4, v7
	s_delay_alu instid0(VALU_DEP_1) | instskip(NEXT) | instid1(VALU_DEP_1)
	v_mul_hi_u32 v4, v5, v4
	v_mul_lo_u32 v7, v4, s24
	v_add_nc_u32_e32 v8, 1, v4
	s_delay_alu instid0(VALU_DEP_2) | instskip(NEXT) | instid1(VALU_DEP_1)
	v_sub_nc_u32_e32 v7, v5, v7
	v_subrev_nc_u32_e32 v9, s24, v7
	v_cmp_le_u32_e32 vcc_lo, s24, v7
	s_wait_alu 0xfffd
	s_delay_alu instid0(VALU_DEP_2) | instskip(NEXT) | instid1(VALU_DEP_1)
	v_dual_cndmask_b32 v7, v7, v9 :: v_dual_cndmask_b32 v4, v4, v8
	v_cmp_le_u32_e32 vcc_lo, s24, v7
	s_delay_alu instid0(VALU_DEP_2) | instskip(SKIP_1) | instid1(VALU_DEP_1)
	v_add_nc_u32_e32 v8, 1, v4
	s_wait_alu 0xfffd
	v_cndmask_b32_e32 v46, v4, v8, vcc_lo
.LBB0_6:                                ;   in Loop: Header=BB0_2 Depth=1
	s_wait_alu 0xfffe
	s_or_b32 exec_lo, exec_lo, s2
	v_mul_lo_u32 v4, v47, s24
	s_delay_alu instid0(VALU_DEP_2)
	v_mul_lo_u32 v9, v46, s25
	s_load_b64 s[26:27], s[18:19], 0x0
	v_mad_co_u64_u32 v[7:8], null, v46, s24, 0
	s_load_b64 s[24:25], s[16:17], 0x0
	s_add_nc_u64 s[22:23], s[22:23], 1
	s_add_nc_u64 s[16:17], s[16:17], 8
	s_wait_alu 0xfffe
	v_cmp_ge_u64_e64 s2, s[22:23], s[10:11]
	s_add_nc_u64 s[18:19], s[18:19], 8
	s_add_nc_u64 s[20:21], s[20:21], 8
	v_add3_u32 v4, v8, v9, v4
	v_sub_co_u32 v5, vcc_lo, v5, v7
	s_wait_alu 0xfffd
	s_delay_alu instid0(VALU_DEP_2) | instskip(SKIP_2) | instid1(VALU_DEP_1)
	v_sub_co_ci_u32_e32 v4, vcc_lo, v6, v4, vcc_lo
	s_and_b32 vcc_lo, exec_lo, s2
	s_wait_kmcnt 0x0
	v_mul_lo_u32 v6, s26, v4
	v_mul_lo_u32 v7, s27, v5
	v_mad_co_u64_u32 v[1:2], null, s26, v5, v[1:2]
	v_mul_lo_u32 v4, s24, v4
	v_mul_lo_u32 v8, s25, v5
	v_mad_co_u64_u32 v[41:42], null, s24, v5, v[41:42]
	s_delay_alu instid0(VALU_DEP_4) | instskip(NEXT) | instid1(VALU_DEP_2)
	v_add3_u32 v2, v7, v2, v6
	v_add3_u32 v42, v8, v42, v4
	s_wait_alu 0xfffe
	s_cbranch_vccnz .LBB0_9
; %bb.7:                                ;   in Loop: Header=BB0_2 Depth=1
	v_dual_mov_b32 v5, v46 :: v_dual_mov_b32 v6, v47
	s_branch .LBB0_2
.LBB0_8:
	v_dual_mov_b32 v42, v2 :: v_dual_mov_b32 v41, v1
	v_dual_mov_b32 v47, v6 :: v_dual_mov_b32 v46, v5
.LBB0_9:
	s_load_b64 s[0:1], s[0:1], 0x28
	s_lshl_b64 s[10:11], s[10:11], 3
                                        ; implicit-def: $vgpr43
                                        ; implicit-def: $vgpr4_vgpr5
	s_wait_alu 0xfffe
	s_add_nc_u64 s[2:3], s[14:15], s[10:11]
	s_wait_kmcnt 0x0
	v_cmp_gt_u64_e32 vcc_lo, s[0:1], v[46:47]
	v_cmp_le_u64_e64 s0, s[0:1], v[46:47]
	s_delay_alu instid0(VALU_DEP_1)
	s_and_saveexec_b32 s1, s0
	s_wait_alu 0xfffe
	s_xor_b32 s0, exec_lo, s1
; %bb.10:
	v_mov_b32_e32 v1, 0
	v_mov_b32_e32 v43, v0
	s_delay_alu instid0(VALU_DEP_2)
	v_dual_mov_b32 v5, v1 :: v_dual_mov_b32 v4, v0
                                        ; implicit-def: $vgpr1_vgpr2
; %bb.11:
	s_wait_alu 0xfffe
	s_or_saveexec_b32 s1, s0
	s_load_b64 s[2:3], s[2:3], 0x0
                                        ; implicit-def: $vgpr45
	s_xor_b32 exec_lo, exec_lo, s1
	s_cbranch_execz .LBB0_15
; %bb.12:
	s_add_nc_u64 s[10:11], s[12:13], s[10:11]
	v_lshlrev_b32_e32 v40, 3, v0
	s_load_b64 s[10:11], s[10:11], 0x0
	s_wait_kmcnt 0x0
	v_mul_lo_u32 v5, s11, v46
	v_mul_lo_u32 v6, s10, v47
	v_mad_co_u64_u32 v[3:4], null, s10, v46, 0
	s_delay_alu instid0(VALU_DEP_1) | instskip(SKIP_1) | instid1(VALU_DEP_2)
	v_add3_u32 v4, v4, v6, v5
	v_lshlrev_b64_e32 v[5:6], 3, v[1:2]
	v_lshlrev_b64_e32 v[3:4], 3, v[3:4]
	s_delay_alu instid0(VALU_DEP_1) | instskip(SKIP_1) | instid1(VALU_DEP_2)
	v_add_co_u32 v1, s0, s4, v3
	s_wait_alu 0xf1ff
	v_add_co_ci_u32_e64 v3, s0, s5, v4, s0
	s_delay_alu instid0(VALU_DEP_2) | instskip(SKIP_2) | instid1(VALU_DEP_3)
	v_add_co_u32 v2, s0, v1, v5
	v_mov_b32_e32 v1, 0
	s_wait_alu 0xf1ff
	v_add_co_ci_u32_e64 v3, s0, v3, v6, s0
	v_or_b32_e32 v72, 0x1c00, v40
	v_add_co_u32 v4, s0, v2, v40
	v_or_b32_e32 v73, 0x3c00, v40
	s_wait_alu 0xf1ff
	v_add_co_ci_u32_e64 v5, s0, 0, v3, s0
	v_add_co_u32 v6, s0, v2, v72
	v_or_b32_e32 v74, 0x5c00, v40
	s_wait_alu 0xf1ff
	v_add_co_ci_u32_e64 v7, s0, 0, v3, s0
	v_add_co_u32 v8, s0, v2, v73
	s_wait_alu 0xf1ff
	v_add_co_ci_u32_e64 v9, s0, 0, v3, s0
	v_add_co_u32 v10, s0, v2, v74
	s_wait_alu 0xf1ff
	v_add_co_ci_u32_e64 v11, s0, 0, v3, s0
	s_clause 0x1d
	global_load_b64 v[12:13], v[4:5], off
	global_load_b64 v[14:15], v[4:5], off offset:1024
	global_load_b64 v[16:17], v[4:5], off offset:2048
	;; [unrolled: 1-line block ×19, first 2 shown]
	global_load_b64 v[8:9], v[8:9], off
	global_load_b64 v[10:11], v[10:11], off
	global_load_b64 v[58:59], v[4:5], off offset:22528
	global_load_b64 v[60:61], v[4:5], off offset:24576
	;; [unrolled: 1-line block ×6, first 2 shown]
	global_load_b64 v[6:7], v[6:7], off
	global_load_b64 v[70:71], v[4:5], off offset:29696
	v_cmp_eq_u32_e64 s0, 0x7f, v0
	v_dual_mov_b32 v43, v0 :: v_dual_add_nc_u32 v40, 0, v40
	v_dual_mov_b32 v5, v1 :: v_dual_mov_b32 v4, v0
	v_add_nc_u32_e32 v72, 0, v72
	v_add_nc_u32_e32 v73, 0, v73
	;; [unrolled: 1-line block ×3, first 2 shown]
	s_wait_loadcnt 0x1c
	ds_store_2addr_stride64_b64 v40, v[12:13], v[14:15] offset1:2
	s_wait_loadcnt 0x1a
	ds_store_2addr_stride64_b64 v40, v[16:17], v[18:19] offset0:4 offset1:6
	s_wait_loadcnt 0x18
	ds_store_2addr_stride64_b64 v40, v[20:21], v[22:23] offset0:8 offset1:10
	;; [unrolled: 2-line block ×9, first 2 shown]
	s_wait_loadcnt 0x9
	ds_store_b64 v73, v[8:9]
	s_wait_loadcnt 0x8
	ds_store_b64 v74, v[10:11]
	s_wait_loadcnt 0x6
	ds_store_2addr_stride64_b64 v40, v[58:59], v[60:61] offset0:44 offset1:48
	s_wait_loadcnt 0x4
	ds_store_2addr_stride64_b64 v40, v[62:63], v[64:65] offset0:50 offset1:52
	;; [unrolled: 2-line block ×3, first 2 shown]
	s_wait_loadcnt 0x1
	ds_store_b64 v72, v[6:7]
	s_wait_loadcnt 0x0
	ds_store_b64 v40, v[70:71] offset:29696
	s_and_saveexec_b32 s4, s0
	s_cbranch_execz .LBB0_14
; %bb.13:
	global_load_b64 v[2:3], v[2:3], off offset:30720
	v_dual_mov_b32 v4, 0x7f :: v_dual_mov_b32 v43, 0x7f
	v_mov_b32_e32 v5, 0
	s_wait_loadcnt 0x0
	ds_store_b64 v1, v[2:3] offset:30720
.LBB0_14:
	s_wait_alu 0xfffe
	s_or_b32 exec_lo, exec_lo, s4
	v_mov_b32_e32 v45, v43
.LBB0_15:
	s_or_b32 exec_lo, exec_lo, s1
	v_lshlrev_b32_e32 v1, 3, v43
	global_wb scope:SCOPE_SE
	s_wait_dscnt 0x0
	s_wait_kmcnt 0x0
	s_barrier_signal -1
	s_barrier_wait -1
	global_inv scope:SCOPE_SE
	v_add_nc_u32_e32 v62, 0, v1
	v_sub_nc_u32_e32 v3, 0, v1
	v_lshlrev_b64_e32 v[50:51], 3, v[4:5]
	s_mov_b32 s1, exec_lo
	ds_load_b32 v6, v62
	ds_load_b32 v7, v3 offset:30720
	s_wait_dscnt 0x0
	v_dual_add_f32 v1, v7, v6 :: v_dual_sub_f32 v2, v6, v7
	v_cmpx_ne_u32_e32 0, v43
	s_wait_alu 0xfffe
	s_xor_b32 s1, exec_lo, s1
	s_cbranch_execz .LBB0_17
; %bb.16:
	v_add_co_u32 v1, s0, s8, v50
	s_wait_alu 0xf1ff
	v_add_co_ci_u32_e64 v2, s0, s9, v51, s0
	v_dual_add_f32 v8, v7, v6 :: v_dual_sub_f32 v9, v6, v7
	global_load_b64 v[4:5], v[1:2], off offset:30640
	ds_load_b32 v1, v3 offset:30724
	ds_load_b32 v2, v62 offset:4
	s_wait_dscnt 0x0
	v_dual_add_f32 v10, v1, v2 :: v_dual_sub_f32 v1, v2, v1
	s_wait_loadcnt 0x0
	v_fma_f32 v6, -v9, v5, v8
	s_delay_alu instid0(VALU_DEP_2) | instskip(SKIP_2) | instid1(VALU_DEP_3)
	v_fma_f32 v7, v10, v5, -v1
	v_fma_f32 v11, v9, v5, v8
	v_fma_f32 v2, v10, v5, v1
	v_dual_fmac_f32 v6, v4, v10 :: v_dual_fmac_f32 v7, v9, v4
	s_delay_alu instid0(VALU_DEP_3) | instskip(NEXT) | instid1(VALU_DEP_3)
	v_fma_f32 v1, -v4, v10, v11
	v_fmac_f32_e32 v2, v9, v4
	ds_store_b64 v3, v[6:7] offset:30720
.LBB0_17:
	s_wait_alu 0xfffe
	s_and_not1_saveexec_b32 s0, s1
	s_cbranch_execz .LBB0_19
; %bb.18:
	v_mov_b32_e32 v6, 0
	ds_load_b64 v[4:5], v6 offset:15360
	s_wait_dscnt 0x0
	v_dual_mul_f32 v5, -2.0, v5 :: v_dual_add_f32 v4, v4, v4
	ds_store_b64 v6, v[4:5] offset:15360
.LBB0_19:
	s_wait_alu 0xfffe
	s_or_b32 exec_lo, exec_lo, s0
	v_mov_b32_e32 v44, 0
	s_add_nc_u64 s[0:1], s[8:9], 0x77b0
	v_or_b32_e32 v65, 0x380, v0
	v_mul_u32_u24_e32 v73, 10, v43
	v_subrev_nc_u32_e32 v0, 64, v0
	v_lshlrev_b64_e32 v[48:49], 3, v[43:44]
	s_wait_alu 0xfffe
	s_delay_alu instid0(VALU_DEP_1) | instskip(SKIP_1) | instid1(VALU_DEP_2)
	v_add_co_u32 v4, s0, s0, v48
	s_wait_alu 0xf1ff
	v_add_co_ci_u32_e64 v5, s0, s1, v49, s0
	v_cmp_gt_u32_e64 s0, 0x78, v43
	s_clause 0x5
	global_load_b64 v[6:7], v[4:5], off offset:1024
	global_load_b64 v[8:9], v[4:5], off offset:2048
	;; [unrolled: 1-line block ×6, first 2 shown]
	v_lshlrev_b32_e32 v64, 3, v65
	ds_store_b64 v62, v[1:2]
	global_load_b64 v[18:19], v64, s[8:9] offset:30640
	ds_load_b64 v[1:2], v62 offset:1024
	ds_load_b64 v[20:21], v3 offset:29696
	global_load_b64 v[22:23], v[4:5], off offset:8192
	s_wait_dscnt 0x0
	v_add_f32_e32 v24, v1, v20
	v_add_f32_e32 v25, v21, v2
	v_dual_sub_f32 v26, v1, v20 :: v_dual_sub_f32 v1, v2, v21
	s_wait_loadcnt 0x7
	s_delay_alu instid0(VALU_DEP_1) | instskip(NEXT) | instid1(VALU_DEP_2)
	v_fma_f32 v27, v26, v7, v24
	v_fma_f32 v2, v25, v7, v1
	v_fma_f32 v21, v25, v7, -v1
	v_fma_f32 v20, -v26, v7, v24
	s_delay_alu instid0(VALU_DEP_4) | instskip(NEXT) | instid1(VALU_DEP_3)
	v_fma_f32 v1, -v6, v25, v27
	v_fmac_f32_e32 v21, v26, v6
	v_dual_fmac_f32 v2, v26, v6 :: v_dual_add_nc_u32 v63, 0, v64
	s_delay_alu instid0(VALU_DEP_4)
	v_fmac_f32_e32 v20, v6, v25
	ds_store_b64 v62, v[1:2] offset:1024
	ds_store_b64 v3, v[20:21] offset:29696
	ds_load_b64 v[1:2], v62 offset:2048
	ds_load_b64 v[6:7], v3 offset:28672
	global_load_b64 v[20:21], v[4:5], off offset:9216
	s_wait_dscnt 0x0
	v_add_f32_e32 v24, v1, v6
	v_add_f32_e32 v25, v7, v2
	v_dual_sub_f32 v26, v1, v6 :: v_dual_sub_f32 v1, v2, v7
	s_wait_loadcnt 0x7
	s_delay_alu instid0(VALU_DEP_1) | instskip(NEXT) | instid1(VALU_DEP_2)
	v_fma_f32 v27, v26, v9, v24
	v_fma_f32 v2, v25, v9, v1
	v_fma_f32 v6, -v26, v9, v24
	v_fma_f32 v7, v25, v9, -v1
	s_delay_alu instid0(VALU_DEP_4) | instskip(NEXT) | instid1(VALU_DEP_4)
	v_fma_f32 v1, -v8, v25, v27
	v_fmac_f32_e32 v2, v26, v8
	s_delay_alu instid0(VALU_DEP_3)
	v_dual_fmac_f32 v6, v8, v25 :: v_dual_fmac_f32 v7, v26, v8
	ds_store_b64 v62, v[1:2] offset:2048
	ds_store_b64 v3, v[6:7] offset:28672
	ds_load_b64 v[1:2], v62 offset:3072
	ds_load_b64 v[6:7], v3 offset:27648
	global_load_b64 v[8:9], v[4:5], off offset:10240
	s_wait_dscnt 0x0
	v_add_f32_e32 v24, v1, v6
	v_add_f32_e32 v25, v7, v2
	v_dual_sub_f32 v26, v1, v6 :: v_dual_sub_f32 v1, v2, v7
	s_wait_loadcnt 0x7
	s_delay_alu instid0(VALU_DEP_1) | instskip(NEXT) | instid1(VALU_DEP_2)
	v_fma_f32 v27, v26, v11, v24
	v_fma_f32 v2, v25, v11, v1
	v_fma_f32 v6, -v26, v11, v24
	v_fma_f32 v7, v25, v11, -v1
	s_delay_alu instid0(VALU_DEP_4) | instskip(NEXT) | instid1(VALU_DEP_4)
	v_fma_f32 v1, -v10, v25, v27
	v_fmac_f32_e32 v2, v26, v10
	s_delay_alu instid0(VALU_DEP_4) | instskip(NEXT) | instid1(VALU_DEP_4)
	v_fmac_f32_e32 v6, v10, v25
	v_fmac_f32_e32 v7, v26, v10
	ds_store_b64 v62, v[1:2] offset:3072
	ds_store_b64 v3, v[6:7] offset:27648
	ds_load_b64 v[1:2], v62 offset:4096
	ds_load_b64 v[6:7], v3 offset:26624
	global_load_b64 v[10:11], v[4:5], off offset:11264
	s_wait_dscnt 0x0
	v_add_f32_e32 v25, v7, v2
	v_sub_f32_e32 v26, v1, v6
	v_dual_add_f32 v24, v1, v6 :: v_dual_sub_f32 v1, v2, v7
	s_wait_loadcnt 0x7
	s_delay_alu instid0(VALU_DEP_1) | instskip(SKIP_1) | instid1(VALU_DEP_2)
	v_fma_f32 v7, v25, v13, -v1
	v_fma_f32 v2, v25, v13, v1
	v_fmac_f32_e32 v7, v26, v12
	v_fma_f32 v27, v26, v13, v24
	v_fma_f32 v6, -v26, v13, v24
	s_delay_alu instid0(VALU_DEP_4) | instskip(NEXT) | instid1(VALU_DEP_3)
	v_fmac_f32_e32 v2, v26, v12
	v_fma_f32 v1, -v12, v25, v27
	s_delay_alu instid0(VALU_DEP_3)
	v_fmac_f32_e32 v6, v12, v25
	ds_store_b64 v62, v[1:2] offset:4096
	ds_store_b64 v3, v[6:7] offset:26624
	ds_load_b64 v[1:2], v62 offset:5120
	ds_load_b64 v[6:7], v3 offset:25600
	global_load_b64 v[12:13], v[4:5], off offset:12288
	s_wait_dscnt 0x0
	v_add_f32_e32 v24, v1, v6
	v_add_f32_e32 v25, v7, v2
	v_dual_sub_f32 v26, v1, v6 :: v_dual_sub_f32 v1, v2, v7
	s_wait_loadcnt 0x7
	s_delay_alu instid0(VALU_DEP_1) | instskip(NEXT) | instid1(VALU_DEP_2)
	v_fma_f32 v27, v26, v15, v24
	v_fma_f32 v2, v25, v15, v1
	v_fma_f32 v6, -v26, v15, v24
	v_fma_f32 v7, v25, v15, -v1
	s_delay_alu instid0(VALU_DEP_4) | instskip(NEXT) | instid1(VALU_DEP_4)
	v_fma_f32 v1, -v14, v25, v27
	v_fmac_f32_e32 v2, v26, v14
	s_delay_alu instid0(VALU_DEP_4) | instskip(NEXT) | instid1(VALU_DEP_4)
	v_fmac_f32_e32 v6, v14, v25
	v_fmac_f32_e32 v7, v26, v14
	ds_store_b64 v62, v[1:2] offset:5120
	ds_store_b64 v3, v[6:7] offset:25600
	ds_load_b64 v[1:2], v62 offset:6144
	ds_load_b64 v[6:7], v3 offset:24576
	global_load_b64 v[14:15], v[4:5], off offset:13312
	s_wait_dscnt 0x0
	v_add_f32_e32 v24, v1, v6
	v_add_f32_e32 v25, v7, v2
	v_dual_sub_f32 v26, v1, v6 :: v_dual_sub_f32 v1, v2, v7
	s_wait_loadcnt 0x7
	s_delay_alu instid0(VALU_DEP_1) | instskip(NEXT) | instid1(VALU_DEP_2)
	v_fma_f32 v27, v26, v17, v24
	v_fma_f32 v2, v25, v17, v1
	v_fma_f32 v6, -v26, v17, v24
	v_fma_f32 v7, v25, v17, -v1
	s_delay_alu instid0(VALU_DEP_4) | instskip(NEXT) | instid1(VALU_DEP_4)
	v_fma_f32 v1, -v16, v25, v27
	v_fmac_f32_e32 v2, v26, v16
	s_delay_alu instid0(VALU_DEP_3)
	v_dual_fmac_f32 v6, v16, v25 :: v_dual_fmac_f32 v7, v26, v16
	ds_store_b64 v62, v[1:2] offset:6144
	ds_store_b64 v3, v[6:7] offset:24576
	ds_load_b64 v[1:2], v63
	ds_load_b64 v[6:7], v3 offset:23552
	global_load_b64 v[4:5], v[4:5], off offset:14336
	s_wait_dscnt 0x0
	v_add_f32_e32 v16, v1, v6
	v_add_f32_e32 v17, v7, v2
	v_dual_sub_f32 v24, v1, v6 :: v_dual_sub_f32 v1, v2, v7
	s_wait_loadcnt 0x7
	s_delay_alu instid0(VALU_DEP_1) | instskip(NEXT) | instid1(VALU_DEP_2)
	v_fma_f32 v25, v24, v19, v16
	v_fma_f32 v2, v17, v19, v1
	v_fma_f32 v6, -v24, v19, v16
	v_fma_f32 v7, v17, v19, -v1
	s_delay_alu instid0(VALU_DEP_4) | instskip(NEXT) | instid1(VALU_DEP_4)
	v_fma_f32 v1, -v18, v17, v25
	v_fmac_f32_e32 v2, v24, v18
	s_delay_alu instid0(VALU_DEP_3)
	v_dual_fmac_f32 v6, v18, v17 :: v_dual_fmac_f32 v7, v24, v18
	ds_store_b64 v63, v[1:2]
	ds_store_b64 v3, v[6:7] offset:23552
	ds_load_b64 v[1:2], v62 offset:8192
	ds_load_b64 v[6:7], v3 offset:22528
	s_wait_dscnt 0x0
	v_add_f32_e32 v17, v7, v2
	v_add_f32_e32 v16, v1, v6
	v_dual_sub_f32 v18, v1, v6 :: v_dual_sub_f32 v1, v2, v7
	s_wait_loadcnt 0x6
	s_delay_alu instid0(VALU_DEP_1) | instskip(NEXT) | instid1(VALU_DEP_2)
	v_fma_f32 v19, v18, v23, v16
	v_fma_f32 v2, v17, v23, v1
	v_fma_f32 v6, -v18, v23, v16
	v_fma_f32 v7, v17, v23, -v1
	s_delay_alu instid0(VALU_DEP_4) | instskip(NEXT) | instid1(VALU_DEP_4)
	v_fma_f32 v1, -v22, v17, v19
	v_fmac_f32_e32 v2, v18, v22
	s_delay_alu instid0(VALU_DEP_4) | instskip(NEXT) | instid1(VALU_DEP_4)
	v_fmac_f32_e32 v6, v22, v17
	v_fmac_f32_e32 v7, v18, v22
	ds_store_b64 v62, v[1:2] offset:8192
	ds_store_b64 v3, v[6:7] offset:22528
	ds_load_b64 v[1:2], v62 offset:9216
	ds_load_b64 v[6:7], v3 offset:21504
	s_wait_dscnt 0x0
	v_add_f32_e32 v16, v1, v6
	v_add_f32_e32 v17, v7, v2
	v_dual_sub_f32 v18, v1, v6 :: v_dual_sub_f32 v1, v2, v7
	s_wait_loadcnt 0x5
	s_delay_alu instid0(VALU_DEP_1) | instskip(NEXT) | instid1(VALU_DEP_2)
	v_fma_f32 v19, v18, v21, v16
	v_fma_f32 v2, v17, v21, v1
	v_fma_f32 v6, -v18, v21, v16
	v_fma_f32 v7, v17, v21, -v1
	s_delay_alu instid0(VALU_DEP_4) | instskip(NEXT) | instid1(VALU_DEP_4)
	v_fma_f32 v1, -v20, v17, v19
	v_fmac_f32_e32 v2, v18, v20
	s_delay_alu instid0(VALU_DEP_3)
	v_dual_fmac_f32 v6, v20, v17 :: v_dual_fmac_f32 v7, v18, v20
	ds_store_b64 v62, v[1:2] offset:9216
	ds_store_b64 v3, v[6:7] offset:21504
	ds_load_b64 v[1:2], v62 offset:10240
	ds_load_b64 v[6:7], v3 offset:20480
	s_wait_dscnt 0x0
	v_add_f32_e32 v16, v1, v6
	v_sub_f32_e32 v18, v1, v6
	v_add_f32_e32 v17, v7, v2
	v_sub_f32_e32 v1, v2, v7
	s_wait_loadcnt 0x4
	s_delay_alu instid0(VALU_DEP_3) | instskip(NEXT) | instid1(VALU_DEP_2)
	v_fma_f32 v19, v18, v9, v16
	v_fma_f32 v2, v17, v9, v1
	v_fma_f32 v6, -v18, v9, v16
	s_delay_alu instid0(VALU_DEP_2) | instskip(SKIP_2) | instid1(VALU_DEP_2)
	v_fmac_f32_e32 v2, v18, v8
	v_fma_f32 v7, v17, v9, -v1
	v_fma_f32 v1, -v8, v17, v19
	v_dual_fmac_f32 v6, v8, v17 :: v_dual_fmac_f32 v7, v18, v8
	ds_store_b64 v62, v[1:2] offset:10240
	ds_store_b64 v3, v[6:7] offset:20480
	ds_load_b64 v[1:2], v62 offset:11264
	ds_load_b64 v[6:7], v3 offset:19456
	s_wait_dscnt 0x0
	v_add_f32_e32 v9, v7, v2
	v_add_f32_e32 v8, v1, v6
	v_dual_sub_f32 v16, v1, v6 :: v_dual_sub_f32 v1, v2, v7
	s_wait_loadcnt 0x3
	s_delay_alu instid0(VALU_DEP_1) | instskip(NEXT) | instid1(VALU_DEP_2)
	v_fma_f32 v17, v16, v11, v8
	v_fma_f32 v2, v9, v11, v1
	v_fma_f32 v6, -v16, v11, v8
	v_fma_f32 v7, v9, v11, -v1
	s_delay_alu instid0(VALU_DEP_4) | instskip(NEXT) | instid1(VALU_DEP_4)
	v_fma_f32 v1, -v10, v9, v17
	v_fmac_f32_e32 v2, v16, v10
	s_delay_alu instid0(VALU_DEP_3)
	v_dual_fmac_f32 v6, v10, v9 :: v_dual_fmac_f32 v7, v16, v10
	ds_store_b64 v62, v[1:2] offset:11264
	ds_store_b64 v3, v[6:7] offset:19456
	ds_load_b64 v[1:2], v62 offset:12288
	ds_load_b64 v[6:7], v3 offset:18432
	s_wait_dscnt 0x0
	v_add_f32_e32 v9, v7, v2
	v_add_f32_e32 v8, v1, v6
	v_dual_sub_f32 v10, v1, v6 :: v_dual_sub_f32 v1, v2, v7
	s_wait_loadcnt 0x2
	s_delay_alu instid0(VALU_DEP_1) | instskip(NEXT) | instid1(VALU_DEP_2)
	v_fma_f32 v11, v10, v13, v8
	v_fma_f32 v2, v9, v13, v1
	v_fma_f32 v6, -v10, v13, v8
	v_fma_f32 v7, v9, v13, -v1
	s_delay_alu instid0(VALU_DEP_4) | instskip(NEXT) | instid1(VALU_DEP_4)
	v_fma_f32 v1, -v12, v9, v11
	v_fmac_f32_e32 v2, v10, v12
	s_delay_alu instid0(VALU_DEP_3)
	v_dual_fmac_f32 v6, v12, v9 :: v_dual_fmac_f32 v7, v10, v12
	ds_store_b64 v62, v[1:2] offset:12288
	ds_store_b64 v3, v[6:7] offset:18432
	ds_load_b64 v[1:2], v62 offset:13312
	ds_load_b64 v[6:7], v3 offset:17408
	s_wait_dscnt 0x0
	v_add_f32_e32 v9, v7, v2
	v_add_f32_e32 v8, v1, v6
	v_dual_sub_f32 v10, v1, v6 :: v_dual_sub_f32 v1, v2, v7
	s_wait_loadcnt 0x1
	s_delay_alu instid0(VALU_DEP_1) | instskip(NEXT) | instid1(VALU_DEP_2)
	v_fma_f32 v11, v10, v15, v8
	v_fma_f32 v2, v9, v15, v1
	v_fma_f32 v6, -v10, v15, v8
	v_fma_f32 v7, v9, v15, -v1
	s_delay_alu instid0(VALU_DEP_4) | instskip(NEXT) | instid1(VALU_DEP_4)
	v_fma_f32 v1, -v14, v9, v11
	v_fmac_f32_e32 v2, v10, v14
	s_delay_alu instid0(VALU_DEP_4) | instskip(NEXT) | instid1(VALU_DEP_4)
	v_fmac_f32_e32 v6, v14, v9
	v_fmac_f32_e32 v7, v10, v14
	ds_store_b64 v62, v[1:2] offset:13312
	ds_store_b64 v3, v[6:7] offset:17408
	ds_load_b64 v[1:2], v62 offset:14336
	ds_load_b64 v[6:7], v3 offset:16384
	s_wait_dscnt 0x0
	v_add_f32_e32 v8, v1, v6
	v_add_f32_e32 v9, v7, v2
	v_dual_sub_f32 v10, v1, v6 :: v_dual_sub_f32 v1, v2, v7
	s_wait_loadcnt 0x0
	s_delay_alu instid0(VALU_DEP_1) | instskip(NEXT) | instid1(VALU_DEP_2)
	v_fma_f32 v11, v10, v5, v8
	v_fma_f32 v2, v9, v5, v1
	v_fma_f32 v6, -v10, v5, v8
	v_fma_f32 v7, v9, v5, -v1
	s_delay_alu instid0(VALU_DEP_4) | instskip(NEXT) | instid1(VALU_DEP_4)
	v_fma_f32 v1, -v4, v9, v11
	v_fmac_f32_e32 v2, v10, v4
	s_delay_alu instid0(VALU_DEP_3)
	v_dual_fmac_f32 v6, v4, v9 :: v_dual_fmac_f32 v7, v10, v4
	ds_store_b64 v62, v[1:2] offset:14336
	ds_store_b64 v3, v[6:7] offset:16384
	global_wb scope:SCOPE_SE
	s_wait_dscnt 0x0
	s_barrier_signal -1
	s_barrier_wait -1
	global_inv scope:SCOPE_SE
	global_wb scope:SCOPE_SE
	s_barrier_signal -1
	s_barrier_wait -1
	global_inv scope:SCOPE_SE
	ds_load_2addr_stride64_b64 v[1:4], v62 offset1:2
	ds_load_2addr_stride64_b64 v[21:24], v62 offset0:12 offset1:14
	ds_load_2addr_stride64_b64 v[13:16], v62 offset0:24 offset1:26
	ds_load_2addr_stride64_b64 v[9:12], v62 offset0:36 offset1:38
	ds_load_2addr_stride64_b64 v[5:8], v62 offset0:48 offset1:50
	ds_load_2addr_stride64_b64 v[17:20], v62 offset0:4 offset1:6
	ds_load_2addr_stride64_b64 v[66:69], v62 offset0:16 offset1:18
	ds_load_2addr_stride64_b64 v[100:103], v62 offset0:28 offset1:30
	ds_load_2addr_stride64_b64 v[104:107], v62 offset0:40 offset1:42
	ds_load_2addr_stride64_b64 v[141:144], v62 offset0:52 offset1:54
	ds_load_2addr_stride64_b64 v[25:28], v62 offset0:8 offset1:10
	ds_load_2addr_stride64_b64 v[145:148], v62 offset0:20 offset1:22
	ds_load_2addr_stride64_b64 v[149:152], v62 offset0:32 offset1:34
	ds_load_2addr_stride64_b64 v[153:156], v62 offset0:44 offset1:46
	ds_load_2addr_stride64_b64 v[29:32], v62 offset0:56 offset1:58
	global_wb scope:SCOPE_SE
	s_wait_dscnt 0x0
	s_barrier_signal -1
	s_barrier_wait -1
	global_inv scope:SCOPE_SE
	v_add_f32_e32 v90, v17, v66
	v_sub_f32_e32 v114, v102, v68
	v_dual_add_f32 v84, v20, v69 :: v_dual_add_f32 v91, v18, v67
	v_add_f32_e32 v58, v1, v21
	v_dual_add_f32 v86, v3, v23 :: v_dual_add_f32 v61, v66, v141
	v_dual_add_f32 v60, v13, v9 :: v_dual_sub_f32 v33, v14, v10
	v_dual_sub_f32 v53, v22, v6 :: v_dual_sub_f32 v116, v21, v13
	v_add_f32_e32 v59, v2, v22
	v_sub_f32_e32 v113, v13, v21
	v_dual_sub_f32 v34, v13, v9 :: v_dual_sub_f32 v121, v10, v6
	v_dual_sub_f32 v122, v6, v10 :: v_dual_sub_f32 v131, v101, v67
	v_dual_sub_f32 v118, v14, v22 :: v_dual_add_f32 v93, v69, v144
	v_dual_sub_f32 v56, v69, v144 :: v_dual_sub_f32 v37, v102, v106
	v_dual_sub_f32 v115, v69, v103 :: v_dual_sub_f32 v110, v103, v69
	v_sub_f32_e32 v127, v144, v107
	v_dual_sub_f32 v40, v16, v12 :: v_dual_add_f32 v133, v67, v142
	v_sub_f32_e32 v77, v23, v15
	v_dual_sub_f32 v78, v15, v23 :: v_dual_sub_f32 v99, v104, v141
	v_add_f32_e32 v89, v4, v24
	v_add_f32_e32 v55, v23, v7
	v_sub_f32_e32 v80, v11, v7
	v_dual_sub_f32 v39, v23, v7 :: v_dual_add_f32 v138, v24, v8
	v_add_f32_e32 v13, v58, v13
	v_dual_sub_f32 v94, v67, v101 :: v_dual_sub_f32 v125, v146, v150
	v_sub_f32_e32 v23, v67, v142
	v_add_f32_e32 v67, v26, v146
	v_dual_add_f32 v58, v86, v15 :: v_dual_add_f32 v69, v28, v148
	v_dual_add_f32 v86, v90, v100 :: v_dual_add_f32 v97, v147, v31
	;; [unrolled: 1-line block ×3, first 2 shown]
	v_dual_sub_f32 v109, v8, v12 :: v_dual_sub_f32 v54, v21, v5
	v_add_f32_e32 v85, v22, v6
	v_dual_sub_f32 v120, v22, v14 :: v_dual_add_f32 v57, v100, v104
	v_dual_add_f32 v70, v19, v68 :: v_dual_add_f32 v83, v102, v106
	v_dual_sub_f32 v36, v103, v107 :: v_dual_sub_f32 v81, v66, v100
	v_add_f32_e32 v87, v103, v107
	v_dual_add_f32 v52, v15, v11 :: v_dual_sub_f32 v21, v66, v141
	v_sub_f32_e32 v82, v100, v66
	v_dual_add_f32 v92, v68, v143 :: v_dual_add_f32 v95, v91, v101
	v_dual_sub_f32 v88, v68, v143 :: v_dual_add_f32 v13, v13, v9
	v_add_f32_e32 v66, v25, v145
	v_dual_add_f32 v14, v59, v14 :: v_dual_sub_f32 v139, v152, v148
	v_dual_add_f32 v59, v89, v16 :: v_dual_add_f32 v84, v84, v103
	v_add_f32_e32 v103, v86, v104
	v_dual_add_f32 v67, v67, v150 :: v_dual_add_f32 v58, v58, v11
	v_sub_f32_e32 v119, v5, v9
	v_sub_f32_e32 v117, v9, v5
	;; [unrolled: 1-line block ×6, first 2 shown]
	v_dual_sub_f32 v74, v16, v24 :: v_dual_sub_f32 v129, v143, v106
	v_dual_add_f32 v134, v101, v105 :: v_dual_add_f32 v59, v59, v12
	v_dual_sub_f32 v24, v100, v104 :: v_dual_sub_f32 v157, v150, v146
	v_dual_sub_f32 v112, v141, v104 :: v_dual_add_f32 v91, v151, v155
	v_dual_add_f32 v68, v27, v147 :: v_dual_add_f32 v69, v69, v152
	v_add_f32_e32 v70, v70, v102
	v_sub_f32_e32 v140, v149, v145
	v_add_f32_e32 v14, v14, v10
	v_add_f32_e32 v104, v95, v105
	;; [unrolled: 1-line block ×3, first 2 shown]
	v_dual_add_f32 v10, v13, v5 :: v_dual_add_f32 v5, v58, v7
	v_dual_add_f32 v7, v103, v141 :: v_dual_add_f32 v102, v84, v107
	v_sub_f32_e32 v141, v154, v30
	v_dual_add_f32 v75, v16, v12 :: v_dual_sub_f32 v38, v15, v11
	v_dual_sub_f32 v135, v105, v142 :: v_dual_sub_f32 v76, v12, v8
	v_add_f32_e32 v89, v149, v153
	v_dual_sub_f32 v22, v101, v105 :: v_dual_sub_f32 v15, v150, v154
	v_dual_sub_f32 v126, v107, v144 :: v_dual_add_f32 v95, v145, v29
	v_dual_sub_f32 v98, v142, v105 :: v_dual_sub_f32 v101, v147, v151
	v_dual_sub_f32 v107, v31, v155 :: v_dual_sub_f32 v124, v145, v149
	v_dual_add_f32 v11, v14, v6 :: v_dual_add_f32 v6, v59, v8
	v_add_f32_e32 v113, v113, v117
	v_dual_sub_f32 v59, v148, v32 :: v_dual_add_f32 v70, v70, v106
	v_dual_sub_f32 v137, v155, v31 :: v_dual_add_f32 v14, v102, v144
	v_add_f32_e32 v109, v79, v109
	v_dual_add_f32 v102, v66, v153 :: v_dual_add_f32 v103, v67, v154
	v_dual_add_f32 v105, v69, v156 :: v_dual_add_f32 v8, v104, v142
	v_dual_add_f32 v99, v82, v99 :: v_dual_sub_f32 v142, v156, v32
	v_add_f32_e32 v101, v101, v107
	v_or_b32_e32 v67, 0x80, v43
	v_add_f32_e32 v136, v152, v156
	v_or_b32_e32 v66, 0x180, v43
	v_sub_f32_e32 v108, v151, v147
	v_add_f32_e32 v142, v139, v142
	v_fma_f32 v139, -0.5, v75, v4
	v_fma_f32 v85, -0.5, v85, v2
	s_delay_alu instid0(VALU_DEP_4)
	v_dual_add_f32 v108, v108, v137 :: v_dual_and_b32 v75, 0xffff, v66
	v_fma_f32 v137, -0.5, v136, v28
	v_lshl_add_u32 v136, v73, 3, 0
	v_add_f32_e32 v68, v68, v151
	v_dual_sub_f32 v128, v106, v143 :: v_dual_sub_f32 v9, v152, v156
	v_add_f32_e32 v90, v150, v154
	v_dual_sub_f32 v100, v148, v152 :: v_dual_add_f32 v131, v131, v135
	v_dual_sub_f32 v84, v145, v29 :: v_dual_add_nc_u32 v117, 0x2830, v136
	v_dual_add_f32 v145, v148, v32 :: v_dual_sub_f32 v130, v30, v154
	v_dual_add_f32 v111, v77, v111 :: v_dual_sub_f32 v106, v32, v156
	v_or_b32_e32 v69, 0x100, v43
	v_add_nc_u32_e32 v135, 0x2810, v136
	s_delay_alu instid0(VALU_DEP_4)
	v_add_f32_e32 v125, v125, v130
	v_fma_f32 v71, -0.5, v71, v1
	v_add_f32_e32 v104, v68, v155
	v_dual_sub_f32 v16, v149, v153 :: v_dual_add_f32 v13, v70, v143
	v_sub_f32_e32 v58, v147, v31
	v_and_b32_e32 v70, 0xff, v43
	v_fma_f32 v93, -0.5, v93, v20
	v_fma_f32 v20, -0.5, v87, v20
	v_add_f32_e32 v87, v100, v106
	v_fma_f32 v90, -0.5, v90, v26
	v_fmamk_f32 v100, v33, 0xbf737871, v71
	v_fmac_f32_e32 v71, 0x3f737871, v33
	v_dual_fmac_f32 v28, -0.5, v145 :: v_dual_add_f32 v31, v104, v31
	v_fmac_f32_e32 v4, -0.5, v138
	v_add_f32_e32 v138, v74, v76
	v_and_b32_e32 v74, 0xffff, v69
	v_dual_sub_f32 v132, v29, v153 :: v_dual_add_f32 v115, v115, v127
	v_fma_f32 v92, -0.5, v92, v19
	v_add_f32_e32 v118, v118, v121
	s_delay_alu instid0(VALU_DEP_4) | instskip(SKIP_1) | instid1(VALU_DEP_4)
	v_mul_u32_u24_e32 v127, 0xcccd, v74
	v_add_f32_e32 v32, v105, v32
	v_dual_sub_f32 v86, v146, v30 :: v_dual_fmamk_f32 v105, v36, 0xbf737871, v92
	v_add_f32_e32 v110, v110, v126
	v_mul_u32_u24_e32 v126, 0xcccd, v75
	v_lshrrev_b32_e32 v77, 19, v127
	v_dual_add_f32 v96, v146, v30 :: v_dual_add_f32 v123, v123, v129
	v_dual_sub_f32 v146, v153, v29 :: v_dual_add_f32 v127, v78, v80
	s_delay_alu instid0(VALU_DEP_4) | instskip(NEXT) | instid1(VALU_DEP_4)
	v_lshrrev_b32_e32 v78, 19, v126
	v_mul_lo_u16 v126, v77, 10
	v_fma_f32 v72, -0.5, v72, v2
	v_dual_add_f32 v30, v103, v30 :: v_dual_fmamk_f32 v103, v34, 0x3f737871, v85
	v_dual_fmac_f32 v85, 0xbf737871, v34 :: v_dual_add_f32 v116, v116, v119
	v_dual_add_f32 v120, v120, v122 :: v_dual_add_nc_u32 v119, 0x2820, v136
	s_delay_alu instid0(VALU_DEP_2)
	v_dual_add_f32 v114, v114, v128 :: v_dual_fmac_f32 v85, 0x3f167918, v54
	v_sub_nc_u16 v126, v69, v126
	v_fma_f32 v60, -0.5, v60, v1
	v_fma_f32 v19, -0.5, v83, v19
	v_fmac_f32_e32 v71, 0xbf167918, v53
	v_fmac_f32_e32 v103, 0xbf167918, v54
	v_fma_f32 v89, -0.5, v89, v25
	v_fmac_f32_e32 v92, 0x3f737871, v36
	v_fma_f32 v25, -0.5, v95, v25
	v_fma_f32 v95, -0.5, v57, v17
	v_fmamk_f32 v104, v54, 0xbf737871, v72
	v_fmac_f32_e32 v72, 0x3f737871, v54
	v_fmamk_f32 v54, v37, 0x3f737871, v93
	v_dual_fmac_f32 v93, 0xbf737871, v37 :: v_dual_add_f32 v140, v140, v146
	v_fma_f32 v134, -0.5, v134, v18
	v_fmac_f32_e32 v18, -0.5, v133
	v_dual_add_f32 v112, v81, v112 :: v_dual_and_b32 v81, 0xffff, v126
	s_delay_alu instid0(VALU_DEP_4)
	v_dual_add_f32 v94, v94, v98 :: v_dual_fmac_f32 v93, 0x3f167918, v88
	v_dual_add_f32 v29, v102, v29 :: v_dual_fmamk_f32 v102, v53, 0x3f737871, v60
	v_fmac_f32_e32 v60, 0xbf737871, v53
	v_fmac_f32_e32 v100, 0x3f167918, v53
	v_fmamk_f32 v53, v56, 0x3f737871, v19
	v_fmac_f32_e32 v19, 0xbf737871, v56
	v_fmac_f32_e32 v105, 0x3f167918, v56
	;; [unrolled: 1-line block ×3, first 2 shown]
	v_fmamk_f32 v56, v88, 0xbf737871, v20
	v_fmac_f32_e32 v20, 0x3f737871, v88
	v_fma_f32 v17, -0.5, v61, v17
	v_fmamk_f32 v61, v38, 0x3f737871, v4
	v_fmac_f32_e32 v54, 0xbf167918, v88
	v_fma_f32 v88, -0.5, v97, v27
	v_fma_f32 v27, -0.5, v91, v27
	;; [unrolled: 1-line block ×3, first 2 shown]
	v_fmac_f32_e32 v61, 0xbf167918, v39
	v_fma_f32 v3, -0.5, v55, v3
	v_fma_f32 v26, -0.5, v96, v26
	v_mul_u32_u24_e32 v98, 5, v81
	v_fmac_f32_e32 v53, 0x3f167918, v36
	v_fmac_f32_e32 v19, 0xbf167918, v36
	v_fmamk_f32 v57, v40, 0xbf737871, v3
	v_fmac_f32_e32 v3, 0x3f737871, v40
	v_fmac_f32_e32 v102, 0x3f167918, v33
	v_fmamk_f32 v52, v35, 0x3f737871, v91
	v_fmac_f32_e32 v91, 0xbf737871, v35
	v_fmac_f32_e32 v57, 0x3f167918, v35
	v_fmac_f32_e32 v3, 0xbf167918, v35
	v_fmamk_f32 v35, v86, 0x3f737871, v89
	v_fmac_f32_e32 v89, 0xbf737871, v86
	;; [unrolled: 4-line block ×3, first 2 shown]
	v_fmac_f32_e32 v20, 0x3f167918, v37
	v_dual_fmamk_f32 v37, v16, 0x3f737871, v26 :: v_dual_sub_f32 v12, v151, v155
	v_dual_add_f32 v141, v157, v141 :: v_dual_lshlrev_b32 v98, 3, v98
	v_fmamk_f32 v33, v9, 0xbf737871, v88
	v_fmac_f32_e32 v88, 0x3f737871, v9
	v_fmac_f32_e32 v52, 0x3f167918, v40
	v_dual_fmac_f32 v100, 0x3e9e377a, v113 :: v_dual_fmac_f32 v103, 0x3e9e377a, v118
	v_fmamk_f32 v96, v22, 0xbf737871, v17
	v_fmac_f32_e32 v17, 0x3f737871, v22
	v_dual_fmac_f32 v37, 0xbf167918, v84 :: v_dual_fmac_f32 v88, 0xbf167918, v59
	v_or_b32_e32 v68, 0x200, v43
	v_add_f32_e32 v124, v124, v132
	v_fmac_f32_e32 v91, 0xbf167918, v40
	v_dual_fmamk_f32 v40, v39, 0xbf737871, v139 :: v_dual_fmamk_f32 v97, v21, 0xbf737871, v134
	v_fmac_f32_e32 v89, 0xbf167918, v15
	v_fmac_f32_e32 v25, 0xbf167918, v86
	;; [unrolled: 1-line block ×5, first 2 shown]
	v_dual_fmac_f32 v52, 0x3e9e377a, v111 :: v_dual_fmac_f32 v37, 0x3e9e377a, v141
	v_fmamk_f32 v86, v23, 0x3f737871, v95
	v_fmac_f32_e32 v95, 0xbf737871, v23
	v_fmac_f32_e32 v104, 0xbf167918, v34
	v_add_nc_u32_e32 v121, 0x5000, v136
	v_dual_add_f32 v1, v10, v13 :: v_dual_and_b32 v76, 0xffff, v68
	v_add_nc_u32_e32 v129, 0x5010, v136
	v_fmac_f32_e32 v139, 0x3f737871, v39
	v_dual_fmac_f32 v72, 0x3f167918, v34 :: v_dual_fmac_f32 v35, 0x3f167918, v15
	v_fmamk_f32 v34, v12, 0x3f737871, v28
	v_fmac_f32_e32 v28, 0xbf737871, v12
	v_fmamk_f32 v15, v84, 0xbf737871, v90
	v_fmac_f32_e32 v40, 0xbf167918, v38
	v_mul_u32_u24_e32 v145, 0xcccd, v76
	v_fmac_f32_e32 v95, 0xbf167918, v22
	v_mul_lo_u16 v143, 0xcd, v70
	v_fmac_f32_e32 v15, 0xbf167918, v16
	v_fmac_f32_e32 v40, 0x3e9e377a, v109
	;; [unrolled: 1-line block ×3, first 2 shown]
	v_mul_lo_u16 v132, v78, 10
	v_lshrrev_b32_e32 v79, 19, v145
	v_lshrrev_b16 v80, 11, v143
	v_fmac_f32_e32 v17, 0xbf167918, v23
	v_fmac_f32_e32 v28, 0x3e9e377a, v142
	v_sub_nc_u16 v132, v66, v132
	v_mul_lo_u16 v143, v79, 10
	v_dual_fmac_f32 v88, 0x3e9e377a, v108 :: v_dual_fmac_f32 v71, 0x3e9e377a, v113
	v_dual_fmac_f32 v72, 0x3e9e377a, v120 :: v_dual_fmac_f32 v15, 0x3e9e377a, v125
	v_fmac_f32_e32 v96, 0x3f167918, v23
	v_mul_f32_e32 v23, 0x3e9e377a, v28
	v_dual_fmac_f32 v85, 0x3e9e377a, v118 :: v_dual_fmac_f32 v102, 0x3e9e377a, v116
	v_fmac_f32_e32 v134, 0x3f737871, v21
	v_dual_fmac_f32 v54, 0x3e9e377a, v110 :: v_dual_fmac_f32 v3, 0x3e9e377a, v127
	s_delay_alu instid0(VALU_DEP_4)
	v_fma_f32 v23, 0xbf737871, v88, -v23
	v_and_b32_e32 v82, 0xffff, v132
	v_sub_nc_u16 v132, v68, v143
	v_fmac_f32_e32 v90, 0x3f737871, v84
	v_dual_fmac_f32 v104, 0x3e9e377a, v120 :: v_dual_fmac_f32 v61, 0x3e9e377a, v138
	v_fmac_f32_e32 v26, 0xbf737871, v16
	s_delay_alu instid0(VALU_DEP_4)
	v_and_b32_e32 v83, 0xffff, v132
	v_fmamk_f32 v132, v24, 0x3f737871, v18
	v_fmac_f32_e32 v18, 0xbf737871, v24
	v_fmac_f32_e32 v139, 0x3f167918, v38
	v_add_nc_u32_e32 v122, 0x2840, v136
	v_dual_fmac_f32 v92, 0x3e9e377a, v114 :: v_dual_fmac_f32 v57, 0x3e9e377a, v127
	s_delay_alu instid0(VALU_DEP_4)
	v_fmac_f32_e32 v18, 0x3f167918, v21
	v_fmac_f32_e32 v132, 0xbf167918, v21
	v_fmamk_f32 v21, v58, 0xbf737871, v137
	v_fmac_f32_e32 v137, 0x3f737871, v58
	v_fmac_f32_e32 v34, 0xbf167918, v58
	v_dual_fmac_f32 v18, 0x3e9e377a, v131 :: v_dual_fmac_f32 v93, 0x3e9e377a, v110
	s_delay_alu instid0(VALU_DEP_4) | instskip(SKIP_1) | instid1(VALU_DEP_4)
	v_fmac_f32_e32 v21, 0xbf167918, v12
	v_fmac_f32_e32 v4, 0xbf737871, v38
	;; [unrolled: 1-line block ×3, first 2 shown]
	v_dual_fmac_f32 v60, 0x3e9e377a, v116 :: v_dual_fmac_f32 v139, 0x3e9e377a, v109
	s_delay_alu instid0(VALU_DEP_4)
	v_fmac_f32_e32 v21, 0x3e9e377a, v87
	v_fmac_f32_e32 v90, 0x3f167918, v16
	v_fmamk_f32 v16, v59, 0x3f737871, v27
	v_fmac_f32_e32 v27, 0xbf737871, v59
	v_fmac_f32_e32 v33, 0x3e9e377a, v108
	v_mul_f32_e32 v38, 0x3e9e377a, v92
	s_delay_alu instid0(VALU_DEP_4) | instskip(NEXT) | instid1(VALU_DEP_4)
	v_dual_fmac_f32 v137, 0x3f167918, v12 :: v_dual_fmac_f32 v16, 0x3f167918, v9
	v_fmac_f32_e32 v27, 0xbf167918, v9
	v_dual_sub_f32 v9, v10, v13 :: v_dual_sub_f32 v10, v11, v14
	v_fmac_f32_e32 v132, 0x3e9e377a, v131
	s_delay_alu instid0(VALU_DEP_4) | instskip(NEXT) | instid1(VALU_DEP_4)
	v_fmac_f32_e32 v16, 0x3e9e377a, v101
	v_dual_fmac_f32 v27, 0x3e9e377a, v101 :: v_dual_add_f32 v12, v6, v30
	v_dual_sub_f32 v6, v6, v30 :: v_dual_fmac_f32 v19, 0x3e9e377a, v123
	s_delay_alu instid0(VALU_DEP_3)
	v_mul_f32_e32 v108, 0xbf167918, v16
	v_mul_f32_e32 v101, 0x3f4f1bbd, v16
	v_fmac_f32_e32 v53, 0x3e9e377a, v123
	v_fmac_f32_e32 v20, 0x3e9e377a, v115
	v_add_nc_u32_e32 v128, 0x5020, v136
	v_fmac_f32_e32 v108, 0x3f4f1bbd, v21
	v_fmac_f32_e32 v101, 0x3f167918, v21
	v_sub_f32_e32 v21, v18, v23
	v_fmac_f32_e32 v4, 0x3f167918, v39
	v_mul_f32_e32 v39, 0x3e9e377a, v93
	v_add_nc_u32_e32 v144, 0x5030, v136
	v_dual_fmac_f32 v97, 0xbf167918, v24 :: v_dual_add_f32 v2, v11, v14
	s_delay_alu instid0(VALU_DEP_4) | instskip(NEXT) | instid1(VALU_DEP_4)
	v_fmac_f32_e32 v4, 0x3e9e377a, v138
	v_fma_f32 v39, 0xbf737871, v92, -v39
	v_fmac_f32_e32 v26, 0x3f167918, v84
	v_fmac_f32_e32 v25, 0x3e9e377a, v140
	v_add_f32_e32 v11, v5, v29
	v_sub_f32_e32 v5, v5, v29
	s_delay_alu instid0(VALU_DEP_4)
	v_dual_fmac_f32 v105, 0x3e9e377a, v114 :: v_dual_fmac_f32 v26, 0x3e9e377a, v141
	v_mul_f32_e32 v29, 0x3f4f1bbd, v53
	v_mul_f32_e32 v30, 0xbf167918, v53
	;; [unrolled: 1-line block ×3, first 2 shown]
	v_dual_mul_f32 v55, 0x3f4f1bbd, v20 :: v_dual_mul_f32 v16, 0x3f4f1bbd, v27
	v_add_f32_e32 v14, v8, v32
	v_dual_sub_f32 v8, v8, v32 :: v_dual_fmac_f32 v91, 0x3e9e377a, v111
	v_dual_fmac_f32 v90, 0x3e9e377a, v125 :: v_dual_fmac_f32 v97, 0x3e9e377a, v94
	v_mul_f32_e32 v32, 0xbf737871, v105
	v_mul_f32_e32 v58, 0x3e9e377a, v25
	v_fma_f32 v20, 0x3f167918, v20, -v53
	v_fma_f32 v53, 0xbf167918, v19, -v55
	v_add_f32_e32 v19, v18, v23
	v_mul_u32_u24_e32 v107, 5, v82
	v_dual_add_f32 v13, v7, v31 :: v_dual_add_nc_u32 v126, 0x5040, v136
	v_sub_f32_e32 v7, v7, v31
	v_mul_f32_e32 v31, 0x3f737871, v54
	s_delay_alu instid0(VALU_DEP_4)
	v_lshlrev_b32_e32 v107, 3, v107
	v_fmac_f32_e32 v35, 0x3e9e377a, v124
	v_fmac_f32_e32 v89, 0x3e9e377a, v124
	v_mul_f32_e32 v59, 0x3f737871, v37
	v_mul_f32_e32 v109, 0x3f737871, v34
	v_fmac_f32_e32 v32, 0x3e9e377a, v54
	v_fmac_f32_e32 v86, 0x3f167918, v22
	v_mul_f32_e32 v22, 0x3e9e377a, v88
	v_fma_f32 v54, 0x3f737871, v26, -v58
	v_fmac_f32_e32 v109, 0x3e9e377a, v33
	v_fmac_f32_e32 v134, 0x3f167918, v24
	v_mul_f32_e32 v24, 0x3e9e377a, v26
	v_dual_fmac_f32 v86, 0x3e9e377a, v112 :: v_dual_fmac_f32 v137, 0x3e9e377a, v87
	v_fmac_f32_e32 v95, 0x3e9e377a, v112
	v_mul_f32_e32 v84, 0x3f4f1bbd, v35
	v_mul_f32_e32 v87, 0xbf167918, v35
	v_fma_f32 v112, 0x3f737871, v28, -v22
	v_fma_f32 v22, 0xbf737871, v25, -v24
	v_mul_f32_e32 v35, 0x3f4f1bbd, v89
	v_fmac_f32_e32 v17, 0x3e9e377a, v99
	v_mul_f32_e32 v110, 0xbf737871, v33
	v_mul_f32_e32 v111, 0x3f4f1bbd, v137
	v_fmac_f32_e32 v29, 0x3f167918, v56
	v_fmac_f32_e32 v36, 0x3e9e377a, v140
	v_fma_f32 v92, 0x3f167918, v137, -v16
	v_add_f32_e32 v16, v4, v22
	v_fma_f32 v88, 0x3f167918, v90, -v35
	v_dual_add_f32 v35, v72, v53 :: v_dual_fmac_f32 v96, 0x3e9e377a, v99
	v_fmac_f32_e32 v31, 0x3e9e377a, v105
	v_dual_mul_f32 v99, 0x3f4f1bbd, v90 :: v_dual_fmac_f32 v30, 0x3f4f1bbd, v56
	v_fma_f32 v38, 0x3f737871, v93, -v38
	v_fmac_f32_e32 v59, 0x3e9e377a, v36
	v_dual_fmac_f32 v87, 0x3f4f1bbd, v15 :: v_dual_sub_f32 v24, v102, v29
	v_sub_f32_e32 v4, v4, v22
	v_fma_f32 v93, 0xbf167918, v27, -v111
	v_fmac_f32_e32 v110, 0x3e9e377a, v34
	v_fmac_f32_e32 v84, 0x3f167918, v15
	v_add_f32_e32 v22, v102, v29
	v_fma_f32 v89, 0xbf167918, v89, -v99
	v_add_f32_e32 v15, v3, v54
	v_fmac_f32_e32 v134, 0x3e9e377a, v94
	v_mul_f32_e32 v94, 0xbf737871, v36
	v_mul_lo_u16 v106, v80, 10
	v_add_f32_e32 v23, v104, v30
	v_add_f32_e32 v34, v60, v20
	v_dual_sub_f32 v36, v60, v20 :: v_dual_sub_f32 v3, v3, v54
	v_add_f32_e32 v54, v57, v59
	v_sub_f32_e32 v56, v57, v59
	v_add_f32_e32 v58, v91, v88
	v_add_f32_e32 v59, v139, v89
	v_dual_sub_f32 v60, v91, v88 :: v_dual_lshlrev_b32 v81, 3, v81
	v_add_f32_e32 v91, v134, v93
	v_dual_fmac_f32 v94, 0x3e9e377a, v37 :: v_dual_sub_f32 v25, v104, v30
	v_dual_add_f32 v26, v100, v31 :: v_dual_sub_f32 v93, v134, v93
	v_dual_add_f32 v27, v103, v32 :: v_dual_sub_f32 v28, v100, v31
	v_dual_add_f32 v30, v71, v38 :: v_dual_add_f32 v31, v85, v39
	v_sub_f32_e32 v29, v103, v32
	v_dual_sub_f32 v32, v71, v38 :: v_dual_sub_f32 v33, v85, v39
	v_sub_f32_e32 v37, v72, v53
	v_add_nc_u32_e32 v133, 0x2800, v136
	v_add_f32_e32 v39, v40, v87
	v_sub_f32_e32 v53, v40, v87
	v_add_f32_e32 v55, v61, v94
	v_sub_f32_e32 v57, v61, v94
	v_dual_sub_f32 v61, v139, v89 :: v_dual_add_f32 v18, v17, v112
	v_dual_sub_f32 v20, v17, v112 :: v_dual_add_f32 v71, v86, v101
	v_add_f32_e32 v72, v97, v108
	v_sub_f32_e32 v85, v97, v108
	v_add_f32_e32 v87, v132, v110
	v_add_f32_e32 v38, v52, v84
	v_sub_f32_e32 v52, v52, v84
	v_sub_f32_e32 v84, v86, v101
	v_add_f32_e32 v86, v96, v109
	v_sub_f32_e32 v88, v96, v109
	v_dual_sub_f32 v89, v132, v110 :: v_dual_add_f32 v90, v95, v92
	v_sub_f32_e32 v92, v95, v92
	ds_store_2addr_b64 v136, v[1:2], v[22:23] offset1:1
	ds_store_2addr_b64 v136, v[26:27], v[30:31] offset0:2 offset1:3
	ds_store_2addr_b64 v136, v[34:35], v[9:10] offset0:4 offset1:5
	;; [unrolled: 1-line block ×4, first 2 shown]
	ds_store_2addr_b64 v133, v[11:12], v[38:39] offset1:1
	ds_store_2addr_b64 v135, v[54:55], v[15:16] offset1:1
	;; [unrolled: 1-line block ×10, first 2 shown]
	v_sub_nc_u16 v1, v43, v106
	v_mul_u32_u24_e32 v2, 5, v83
	v_and_b32_e32 v73, 0xff, v67
	global_wb scope:SCOPE_SE
	s_wait_dscnt 0x0
	s_barrier_signal -1
	v_and_b32_e32 v87, 0xff, v1
	v_lshlrev_b32_e32 v25, 3, v2
	v_mul_lo_u16 v130, 0xcd, v73
	s_barrier_wait -1
	global_inv scope:SCOPE_SE
	v_mul_u32_u24_e32 v2, 5, v87
	s_clause 0x1
	global_load_b128 v[37:40], v98, s[8:9] offset:16
	global_load_b128 v[29:32], v107, s[8:9] offset:16
	v_lshrrev_b16 v89, 11, v130
	global_load_b128 v[33:36], v25, s[8:9] offset:16
	v_lshlrev_b32_e32 v26, 3, v2
	v_mul_lo_u16 v84, 0x89, v70
	v_or_b32_e32 v71, 0x280, v43
	v_mul_lo_u16 v3, v89, 10
	v_mul_u32_u24_e32 v92, 0x8889, v74
	global_load_b64 v[60:61], v26, s[8:9] offset:32
	v_lshrrev_b16 v91, 13, v84
	v_mul_u32_u24_e32 v74, 0x8889, v75
	v_sub_nc_u16 v1, v67, v3
	v_and_b32_e32 v85, 0xffff, v71
	v_mul_lo_u16 v90, 0x89, v73
	v_and_b32_e32 v73, 0xffff, v80
	v_mul_lo_u16 v93, v91, 60
	v_and_b32_e32 v88, 0xff, v1
	v_lshrrev_b32_e32 v86, 21, v92
	v_lshrrev_b32_e32 v80, 21, v74
	v_mul_u32_u24_e32 v75, 0x8889, v85
	v_lshrrev_b16 v85, 13, v90
	v_mul_u32_u24_e32 v1, 5, v88
	v_mul_u32_u24_e32 v102, 0x1e0, v79
	v_sub_nc_u16 v79, v43, v93
	v_mul_lo_u16 v93, v86, 60
	v_mul_lo_u16 v94, v80, 60
	v_lshlrev_b32_e32 v17, 3, v1
	s_clause 0xa
	global_load_b128 v[21:24], v17, s[8:9] offset:16
	global_load_b128 v[13:16], v26, s[8:9] offset:16
	global_load_b128 v[9:12], v25, s[8:9]
	global_load_b128 v[5:8], v107, s[8:9]
	;; [unrolled: 1-line block ×3, first 2 shown]
	global_load_b64 v[54:55], v17, s[8:9] offset:32
	global_load_b64 v[52:53], v98, s[8:9] offset:32
	global_load_b128 v[17:20], v17, s[8:9]
	global_load_b64 v[56:57], v107, s[8:9] offset:32
	global_load_b64 v[58:59], v25, s[8:9] offset:32
	global_load_b128 v[25:28], v26, s[8:9]
	v_mul_u32_u24_e32 v101, 0x1e0, v78
	v_mul_lo_u16 v78, v85, 60
	v_sub_nc_u16 v93, v69, v93
	v_sub_nc_u16 v94, v66, v94
	v_and_b32_e32 v79, 0xff, v79
	v_lshlrev_b32_e32 v82, 3, v82
	v_sub_nc_u16 v78, v67, v78
	v_and_b32_e32 v138, 0xffff, v93
	v_and_b32_e32 v139, 0xffff, v94
	ds_load_2addr_stride64_b64 v[93:96], v62 offset0:32 offset1:34
	v_lshlrev_b32_e32 v83, 3, v83
	v_and_b32_e32 v103, 0xff, v78
	v_lshlrev_b32_e32 v78, 3, v79
	ds_load_2addr_stride64_b64 v[97:100], v62 offset0:44 offset1:46
	v_add3_u32 v140, 0, v101, v82
	v_add3_u32 v83, 0, v102, v83
	v_lshlrev_b32_e32 v79, 3, v103
	ds_load_2addr_stride64_b64 v[101:104], v62 offset0:36 offset1:38
	ds_load_2addr_stride64_b64 v[105:108], v62 offset0:40 offset1:42
	;; [unrolled: 1-line block ×9, first 2 shown]
	v_mul_u32_u24_e32 v77, 0x1e0, v77
	v_and_b32_e32 v89, 0xffff, v89
	v_mul_u32_u24_e32 v73, 0x1e0, v73
	v_lshlrev_b32_e32 v87, 3, v87
	v_mul_u32_u24_e32 v76, 0x8889, v76
	v_add3_u32 v77, 0, v77, v81
	v_mul_u32_u24_e32 v89, 0x1e0, v89
	v_or_b32_e32 v72, 0x300, v43
	v_add3_u32 v73, 0, v73, v87
	v_lshrrev_b32_e32 v84, 21, v76
	v_or_b32_e32 v70, 0x400, v43
	v_mul_u32_u24_e32 v86, 0x3c0, v86
	v_and_b32_e32 v137, 0xffff, v72
	v_mul_u32_u24_e32 v80, 0x3c0, v80
	v_and_b32_e32 v85, 0xffff, v85
	s_delay_alu instid0(VALU_DEP_1)
	v_mul_u32_u24_e32 v85, 0x3c0, v85
	s_wait_loadcnt_dscnt 0xe0a
	v_mul_f32_e32 v81, v96, v38
	v_mul_f32_e32 v82, v95, v38
	s_wait_loadcnt_dscnt 0xd09
	v_mul_f32_e32 v141, v99, v32
	v_mul_f32_e32 v38, v98, v40
	;; [unrolled: 1-line block ×3, first 2 shown]
	v_fma_f32 v81, v95, v37, -v81
	s_delay_alu instid0(VALU_DEP_4) | instskip(SKIP_4) | instid1(VALU_DEP_2)
	v_fmac_f32_e32 v141, v100, v31
	s_wait_loadcnt_dscnt 0xb05
	v_mul_f32_e32 v95, v116, v61
	v_mul_f32_e32 v61, v115, v61
	v_fmac_f32_e32 v87, v98, v39
	v_fmac_f32_e32 v61, v116, v60
	v_lshlrev_b32_e32 v88, 3, v88
	s_delay_alu instid0(VALU_DEP_1) | instskip(SKIP_3) | instid1(VALU_DEP_3)
	v_add3_u32 v89, 0, v89, v88
	v_mul_f32_e32 v88, v100, v32
	v_mul_f32_e32 v32, v102, v30
	v_mul_f32_e32 v100, v103, v34
	v_fma_f32 v88, v99, v31, -v88
	v_mul_f32_e32 v99, v101, v30
	v_mul_f32_e32 v30, v104, v34
	;; [unrolled: 1-line block ×3, first 2 shown]
	v_fmac_f32_e32 v100, v104, v33
	s_delay_alu instid0(VALU_DEP_4) | instskip(NEXT) | instid1(VALU_DEP_3)
	v_dual_fmac_f32 v99, v102, v29 :: v_dual_mul_f32 v102, v113, v36
	v_fma_f32 v104, v113, v35, -v34
	v_fma_f32 v113, v115, v60, -v95
	s_wait_loadcnt 0xa
	v_mul_f32_e32 v60, v94, v22
	v_mul_f32_e32 v22, v93, v22
	v_fmac_f32_e32 v102, v114, v35
	v_mul_f32_e32 v114, v108, v24
	s_delay_alu instid0(VALU_DEP_4) | instskip(NEXT) | instid1(VALU_DEP_4)
	v_fma_f32 v60, v93, v21, -v60
	v_dual_fmac_f32 v22, v94, v21 :: v_dual_mul_f32 v21, v107, v24
	s_delay_alu instid0(VALU_DEP_3)
	v_fma_f32 v94, v107, v23, -v114
	s_wait_loadcnt_dscnt 0x804
	v_mul_f32_e32 v107, v120, v10
	v_fma_f32 v142, v97, v39, -v38
	v_mul_f32_e32 v93, v112, v14
	v_fmac_f32_e32 v21, v108, v23
	v_dual_fmac_f32 v82, v96, v37 :: v_dual_mul_f32 v23, v110, v12
	ds_load_2addr_stride64_b64 v[37:40], v62 offset0:56 offset1:58
	v_mul_f32_e32 v12, v109, v12
	v_mul_f32_e32 v14, v111, v14
	s_wait_loadcnt_dscnt 0x402
	v_mul_f32_e32 v108, v132, v53
	v_fma_f32 v23, v109, v11, -v23
	v_dual_mul_f32 v109, v127, v2 :: v_dual_mul_f32 v24, v106, v16
	v_fmac_f32_e32 v12, v110, v11
	v_mul_f32_e32 v11, v129, v55
	v_dual_mul_f32 v16, v105, v16 :: v_dual_mul_f32 v53, v131, v53
	s_delay_alu instid0(VALU_DEP_4) | instskip(SKIP_1) | instid1(VALU_DEP_4)
	v_fmac_f32_e32 v109, v128, v1
	v_fma_f32 v24, v105, v15, -v24
	v_fmac_f32_e32 v11, v130, v54
	s_delay_alu instid0(VALU_DEP_4)
	v_dual_fmac_f32 v16, v106, v15 :: v_dual_mul_f32 v105, v119, v10
	v_mul_f32_e32 v10, v118, v6
	v_fma_f32 v101, v101, v29, -v32
	v_fma_f32 v15, v111, v13, -v93
	v_mul_f32_e32 v93, v130, v55
	v_mul_f32_e32 v55, v128, v2
	s_wait_loadcnt 0x3
	v_mul_f32_e32 v2, v126, v18
	v_mul_f32_e32 v110, v125, v18
	v_fma_f32 v111, v117, v5, -v10
	s_wait_loadcnt_dscnt 0x200
	v_dual_mul_f32 v10, v38, v57 :: v_dual_fmac_f32 v53, v132, v52
	s_wait_loadcnt 0x0
	v_dual_mul_f32 v18, v37, v57 :: v_dual_mul_f32 v57, v134, v28
	v_dual_fmac_f32 v14, v112, v13 :: v_dual_mul_f32 v13, v122, v4
	v_fma_f32 v103, v103, v33, -v30
	ds_load_2addr_stride64_b64 v[33:36], v62 offset1:2
	ds_load_2addr_stride64_b64 v[29:32], v62 offset0:8 offset1:10
	v_mul_f32_e32 v106, v117, v6
	v_mul_f32_e32 v4, v121, v4
	v_fma_f32 v107, v119, v9, -v107
	v_fmac_f32_e32 v105, v120, v9
	v_mul_f32_e32 v9, v136, v20
	v_fma_f32 v13, v121, v3, -v13
	v_fmac_f32_e32 v4, v122, v3
	v_fma_f32 v3, v129, v54, -v93
	v_fma_f32 v54, v131, v52, -v108
	;; [unrolled: 1-line block ×4, first 2 shown]
	v_add_f32_e32 v125, v105, v100
	v_fma_f32 v1, v135, v19, -v9
	v_dual_fmac_f32 v106, v118, v5 :: v_dual_mul_f32 v5, v135, v20
	v_fma_f32 v2, v37, v56, -v10
	v_fma_f32 v10, v133, v27, -v57
	s_delay_alu instid0(VALU_DEP_4)
	v_sub_f32_e32 v93, v1, v94
	ds_load_2addr_stride64_b64 v[95:98], v62 offset0:4 offset1:6
	v_mul_f32_e32 v6, v124, v8
	v_fmac_f32_e32 v5, v136, v19
	v_add_f32_e32 v19, v10, v24
	v_dual_mul_f32 v8, v123, v8 :: v_dual_add_f32 v115, v101, v2
	s_wait_dscnt 0x2
	v_dual_add_f32 v108, v1, v94 :: v_dual_add_f32 v1, v35, v1
	v_dual_fmac_f32 v110, v126, v17 :: v_dual_add_f32 v127, v4, v87
	v_add_f32_e32 v17, v33, v10
	v_fma_f32 v6, v123, v7, -v6
	v_fmac_f32_e32 v8, v124, v7
	v_mul_f32_e32 v7, v39, v59
	s_wait_dscnt 0x1
	v_dual_mul_f32 v20, v40, v59 :: v_dual_mul_f32 v59, v26, v32
	v_mul_f32_e32 v26, v26, v31
	s_delay_alu instid0(VALU_DEP_3)
	v_dual_add_f32 v116, v111, v101 :: v_dual_fmac_f32 v7, v40, v58
	v_mul_f32_e32 v28, v133, v28
	s_wait_dscnt 0x0
	v_add_f32_e32 v129, v96, v4
	v_dual_fmac_f32 v26, v25, v32 :: v_dual_sub_f32 v133, v82, v53
	v_add_f32_e32 v123, v100, v7
	v_dual_fmac_f32 v28, v134, v27 :: v_dual_sub_f32 v131, v13, v142
	v_fma_f32 v27, v25, v31, -v59
	v_add_f32_e32 v59, v110, v22
	v_fmac_f32_e32 v18, v38, v56
	v_add_f32_e32 v25, v14, v61
	v_add_f32_e32 v38, v15, v113
	;; [unrolled: 1-line block ×3, first 2 shown]
	v_sub_f32_e32 v15, v15, v113
	v_add_f32_e32 v121, v30, v12
	v_add_f32_e32 v117, v99, v18
	v_fma_f32 v9, v39, v58, -v20
	v_dual_add_f32 v58, v22, v11 :: v_dual_fmac_f32 v27, -0.5, v38
	v_add_f32_e32 v20, v34, v28
	v_dual_add_f32 v32, v26, v14 :: v_dual_sub_f32 v135, v23, v104
	v_add_f32_e32 v40, v36, v5
	v_dual_add_f32 v56, v60, v3 :: v_dual_add_f32 v119, v97, v6
	v_add_f32_e32 v112, v8, v141
	v_dual_add_f32 v114, v98, v8 :: v_dual_fmac_f32 v105, -0.5, v123
	v_sub_f32_e32 v136, v8, v141
	v_fmac_f32_e32 v110, -0.5, v58
	v_add_f32_e32 v8, v17, v24
	v_add_f32_e32 v17, v23, v104
	;; [unrolled: 1-line block ×4, first 2 shown]
	v_dual_fmac_f32 v26, -0.5, v25 :: v_dual_add_f32 v25, v1, v94
	v_dual_add_f32 v128, v95, v13 :: v_dual_add_f32 v13, v109, v82
	v_sub_f32_e32 v31, v28, v16
	v_dual_add_f32 v28, v28, v16 :: v_dual_sub_f32 v101, v101, v2
	v_add_f32_e32 v39, v5, v21
	v_dual_add_f32 v57, v55, v60 :: v_dual_add_f32 v120, v12, v102
	v_dual_sub_f32 v132, v4, v87 :: v_dual_add_f32 v13, v13, v53
	v_add_f32_e32 v82, v82, v53
	v_sub_f32_e32 v130, v5, v21
	v_dual_add_f32 v5, v52, v81 :: v_dual_add_f32 v124, v107, v103
	v_dual_add_f32 v53, v116, v2 :: v_dual_add_f32 v122, v103, v9
	v_dual_sub_f32 v103, v103, v9 :: v_dual_sub_f32 v60, v60, v3
	v_fmac_f32_e32 v55, -0.5, v56
	v_fma_f32 v56, -0.5, v19, v33
	v_sub_f32_e32 v10, v10, v24
	v_sub_f32_e32 v14, v14, v61
	v_dual_add_f32 v118, v106, v99 :: v_dual_add_f32 v21, v40, v21
	v_sub_f32_e32 v134, v6, v88
	v_dual_add_f32 v6, v6, v88 :: v_dual_sub_f32 v99, v99, v18
	v_dual_fmac_f32 v111, -0.5, v115 :: v_dual_sub_f32 v24, v12, v102
	v_add_f32_e32 v12, v20, v16
	v_dual_add_f32 v16, v37, v113 :: v_dual_add_f32 v37, v128, v142
	v_dual_sub_f32 v22, v22, v11 :: v_dual_fmac_f32 v107, -0.5, v122
	v_add_f32_e32 v11, v59, v11
	v_add_f32_e32 v40, v119, v88
	;; [unrolled: 1-line block ×3, first 2 shown]
	v_fma_f32 v34, -0.5, v28, v34
	v_add_f32_e32 v19, v23, v104
	v_fma_f32 v87, -0.5, v126, v95
	v_fmamk_f32 v59, v31, 0x3f5db3d7, v56
	v_dual_fmac_f32 v56, 0xbf5db3d7, v31 :: v_dual_fmamk_f32 v95, v103, 0xbf5db3d7, v105
	v_fmamk_f32 v31, v60, 0xbf5db3d7, v110
	v_dual_fmac_f32 v36, -0.5, v39 :: v_dual_add_f32 v39, v5, v54
	v_dual_add_f32 v4, v81, v54 :: v_dual_add_f32 v23, v124, v9
	v_dual_sub_f32 v81, v81, v54 :: v_dual_sub_f32 v100, v100, v7
	v_fmac_f32_e32 v106, -0.5, v117
	s_delay_alu instid0(VALU_DEP_4)
	v_dual_fmac_f32 v30, -0.5, v120 :: v_dual_add_f32 v9, v37, v39
	v_add_f32_e32 v20, v32, v61
	v_dual_fmac_f32 v98, -0.5, v112 :: v_dual_fmac_f32 v105, 0x3f5db3d7, v103
	v_fma_f32 v94, -0.5, v6, v97
	v_fma_f32 v29, -0.5, v17, v29
	v_dual_add_f32 v33, v121, v102 :: v_dual_fmac_f32 v52, -0.5, v4
	v_add_f32_e32 v17, v19, v23
	v_fmac_f32_e32 v109, -0.5, v82
	v_dual_fmamk_f32 v58, v14, 0x3f5db3d7, v27 :: v_dual_sub_f32 v19, v19, v23
	v_dual_fmamk_f32 v61, v10, 0xbf5db3d7, v34 :: v_dual_add_f32 v32, v57, v3
	v_fma_f32 v57, -0.5, v108, v35
	v_fmac_f32_e32 v27, 0xbf5db3d7, v14
	v_fmac_f32_e32 v110, 0x3f5db3d7, v60
	v_fmamk_f32 v60, v22, 0x3f5db3d7, v55
	v_fmac_f32_e32 v55, 0xbf5db3d7, v22
	v_fmamk_f32 v22, v99, 0x3f5db3d7, v111
	v_dual_fmac_f32 v111, 0xbf5db3d7, v99 :: v_dual_fmamk_f32 v82, v93, 0xbf5db3d7, v36
	v_dual_fmac_f32 v36, 0x3f5db3d7, v93 :: v_dual_fmamk_f32 v97, v100, 0x3f5db3d7, v107
	v_fmamk_f32 v93, v101, 0xbf5db3d7, v106
	v_dual_fmac_f32 v106, 0x3f5db3d7, v101 :: v_dual_mul_f32 v103, 0x3f5db3d7, v31
	v_fmamk_f32 v101, v135, 0xbf5db3d7, v30
	v_add_f32_e32 v1, v8, v16
	v_fmamk_f32 v35, v15, 0xbf5db3d7, v26
	v_sub_f32_e32 v3, v8, v16
	v_dual_fmac_f32 v107, 0xbf5db3d7, v100 :: v_dual_add_f32 v18, v118, v18
	v_dual_add_f32 v5, v25, v32 :: v_dual_add_f32 v54, v114, v141
	v_add_f32_e32 v6, v21, v11
	v_dual_sub_f32 v8, v21, v11 :: v_dual_mul_f32 v115, 0x3f5db3d7, v93
	v_sub_f32_e32 v11, v37, v39
	v_add_f32_e32 v28, v125, v7
	v_fma_f32 v88, -0.5, v127, v96
	v_add_f32_e32 v2, v12, v20
	v_sub_f32_e32 v4, v12, v20
	v_fmac_f32_e32 v34, 0x3f5db3d7, v10
	v_fmac_f32_e32 v26, 0x3f5db3d7, v15
	v_dual_fmamk_f32 v96, v134, 0xbf5db3d7, v98 :: v_dual_fmamk_f32 v23, v81, 0xbf5db3d7, v109
	v_dual_fmac_f32 v98, 0x3f5db3d7, v134 :: v_dual_mul_f32 v37, -0.5, v105
	v_dual_sub_f32 v7, v25, v32 :: v_dual_sub_f32 v12, v38, v13
	v_mul_f32_e32 v119, -0.5, v107
	v_sub_f32_e32 v15, v40, v53
	v_dual_fmamk_f32 v21, v133, 0x3f5db3d7, v52 :: v_dual_sub_f32 v16, v54, v18
	v_fmac_f32_e32 v103, 0.5, v60
	v_fmac_f32_e32 v109, 0x3f5db3d7, v81
	v_mul_f32_e32 v25, 0x3f5db3d7, v35
	v_mul_f32_e32 v39, 0xbf5db3d7, v58
	v_add_f32_e32 v14, v54, v18
	v_dual_add_f32 v18, v33, v28 :: v_dual_mul_f32 v81, -0.5, v55
	s_delay_alu instid0(VALU_DEP_4)
	v_dual_fmac_f32 v25, 0.5, v58 :: v_dual_add_f32 v10, v38, v13
	v_mul_f32_e32 v117, 0xbf5db3d7, v22
	v_add_f32_e32 v13, v40, v53
	v_dual_mul_f32 v53, -0.5, v27 :: v_dual_sub_f32 v20, v33, v28
	v_dual_mul_f32 v33, -0.5, v106 :: v_dual_fmac_f32 v52, 0xbf5db3d7, v133
	v_dual_mul_f32 v104, 0xbf5db3d7, v60 :: v_dual_fmac_f32 v115, 0.5, v22
	v_dual_fmac_f32 v39, 0.5, v35 :: v_dual_mul_f32 v112, 0xbf5db3d7, v21
	s_delay_alu instid0(VALU_DEP_3) | instskip(NEXT) | instid1(VALU_DEP_4)
	v_fmac_f32_e32 v33, 0xbf5db3d7, v111
	v_dual_fmac_f32 v30, 0x3f5db3d7, v135 :: v_dual_mul_f32 v113, -0.5, v52
	v_fmamk_f32 v100, v136, 0x3f5db3d7, v94
	v_dual_fmac_f32 v94, 0xbf5db3d7, v136 :: v_dual_fmac_f32 v37, 0xbf5db3d7, v107
	v_mul_f32_e32 v118, 0x3f5db3d7, v95
	v_fmamk_f32 v32, v130, 0x3f5db3d7, v57
	v_fmac_f32_e32 v57, 0xbf5db3d7, v130
	v_fmamk_f32 v40, v132, 0x3f5db3d7, v87
	v_fmac_f32_e32 v87, 0xbf5db3d7, v132
	v_fmamk_f32 v99, v131, 0xbf5db3d7, v88
	v_dual_fmac_f32 v88, 0x3f5db3d7, v131 :: v_dual_fmac_f32 v81, 0x3f5db3d7, v110
	v_fmamk_f32 v102, v24, 0x3f5db3d7, v29
	v_dual_mul_f32 v54, -0.5, v26 :: v_dual_fmac_f32 v117, 0.5, v93
	v_dual_mul_f32 v28, -0.5, v110 :: v_dual_fmac_f32 v119, 0x3f5db3d7, v105
	v_dual_mul_f32 v116, -0.5, v111 :: v_dual_add_f32 v35, v30, v37
	v_dual_fmac_f32 v53, 0x3f5db3d7, v26 :: v_dual_mul_f32 v108, 0x3f5db3d7, v23
	v_fmac_f32_e32 v113, 0x3f5db3d7, v109
	v_sub_f32_e32 v37, v30, v37
	v_dual_fmac_f32 v118, 0.5, v97 :: v_dual_add_f32 v93, v100, v115
	v_add_f32_e32 v22, v61, v39
	v_sub_f32_e32 v39, v61, v39
	v_dual_fmac_f32 v112, 0.5, v23 :: v_dual_fmac_f32 v29, 0xbf5db3d7, v24
	v_fmac_f32_e32 v54, 0xbf5db3d7, v27
	v_dual_fmac_f32 v28, 0xbf5db3d7, v55 :: v_dual_sub_f32 v27, v57, v81
	v_dual_fmac_f32 v104, 0.5, v31 :: v_dual_add_f32 v23, v56, v53
	v_fmac_f32_e32 v108, 0.5, v21
	v_add_f32_e32 v21, v59, v25
	v_sub_f32_e32 v38, v59, v25
	v_add_f32_e32 v25, v57, v81
	v_mul_f32_e32 v114, -0.5, v109
	v_add_f32_e32 v81, v87, v113
	v_dual_add_f32 v59, v99, v112 :: v_dual_mul_f32 v120, 0xbf5db3d7, v97
	v_add_f32_e32 v55, v82, v104
	s_delay_alu instid0(VALU_DEP_4)
	v_dual_fmac_f32 v114, 0xbf5db3d7, v52 :: v_dual_sub_f32 v87, v87, v113
	v_dual_fmac_f32 v116, 0x3f5db3d7, v106 :: v_dual_sub_f32 v61, v99, v112
	v_add_f32_e32 v31, v98, v33
	v_dual_sub_f32 v33, v98, v33 :: v_dual_fmac_f32 v120, 0.5, v95
	v_add_f32_e32 v97, v102, v118
	v_dual_add_f32 v24, v34, v54 :: v_dual_sub_f32 v95, v100, v115
	v_dual_sub_f32 v52, v56, v53 :: v_dual_sub_f32 v53, v34, v54
	v_add_f32_e32 v54, v32, v103
	v_add_f32_e32 v26, v36, v28
	global_wb scope:SCOPE_SE
	s_barrier_signal -1
	s_barrier_wait -1
	global_inv scope:SCOPE_SE
	v_sub_f32_e32 v28, v36, v28
	v_dual_sub_f32 v56, v32, v103 :: v_dual_sub_f32 v57, v82, v104
	v_add_f32_e32 v58, v40, v108
	v_sub_f32_e32 v60, v40, v108
	v_add_f32_e32 v82, v88, v114
	v_sub_f32_e32 v88, v88, v114
	;; [unrolled: 2-line block ×5, first 2 shown]
	v_dual_add_f32 v98, v101, v120 :: v_dual_sub_f32 v99, v102, v118
	v_sub_f32_e32 v100, v101, v120
	ds_store_2addr_b64 v73, v[1:2], v[21:22] offset1:10
	ds_store_2addr_b64 v73, v[23:24], v[3:4] offset0:20 offset1:30
	ds_store_2addr_b64 v73, v[38:39], v[52:53] offset0:40 offset1:50
	ds_store_2addr_b64 v89, v[5:6], v[54:55] offset1:10
	ds_store_2addr_b64 v89, v[25:26], v[7:8] offset0:20 offset1:30
	ds_store_2addr_b64 v89, v[56:57], v[27:28] offset0:40 offset1:50
	;; [unrolled: 3-line block ×5, first 2 shown]
	v_mul_lo_u16 v1, v84, 60
	v_mul_u32_u24_e32 v77, 0x8889, v137
	v_mul_u32_u24_e32 v55, 0x445, v65
	v_lshrrev_b32_e32 v35, 21, v75
	v_lshlrev_b32_e32 v33, 3, v138
	v_sub_nc_u16 v9, v68, v1
	v_lshrrev_b32_e32 v37, 21, v77
	v_lshlrev_b32_e32 v34, 3, v139
	v_lshrrev_b32_e32 v82, 16, v55
	global_wb scope:SCOPE_SE
	s_wait_dscnt 0x0
	v_and_b32_e32 v9, 0xffff, v9
	s_barrier_signal -1
	s_barrier_wait -1
	global_inv scope:SCOPE_SE
	s_clause 0x3
	global_load_b64 v[7:8], v78, s[8:9] offset:400
	global_load_b64 v[5:6], v79, s[8:9] offset:400
	;; [unrolled: 1-line block ×4, first 2 shown]
	v_and_b32_e32 v12, 0xffff, v70
	v_mul_lo_u16 v10, v35, 60
	v_mul_lo_u16 v11, v37, 60
	v_lshlrev_b32_e32 v36, 3, v9
	v_mul_lo_u16 v9, v82, 60
	v_mul_u32_u24_e32 v54, 0x8889, v12
	v_sub_nc_u16 v10, v71, v10
	v_sub_nc_u16 v11, v72, v11
	v_or_b32_e32 v38, 0x480, v43
	v_sub_nc_u16 v9, v65, v9
	v_lshrrev_b32_e32 v98, 21, v54
	v_and_b32_e32 v10, 0xffff, v10
	v_and_b32_e32 v11, 0xffff, v11
	v_or_b32_e32 v39, 0x500, v43
	v_and_b32_e32 v9, 0xffff, v9
	v_mul_lo_u16 v12, v98, 60
	v_lshlrev_b32_e32 v94, 3, v10
	v_lshlrev_b32_e32 v97, 3, v11
	v_or_b32_e32 v40, 0x580, v43
	v_lshlrev_b32_e32 v100, 3, v9
	v_sub_nc_u16 v9, v70, v12
	s_clause 0x3
	global_load_b64 v[17:18], v36, s[8:9] offset:400
	global_load_b64 v[15:16], v94, s[8:9] offset:400
	;; [unrolled: 1-line block ×4, first 2 shown]
	v_and_b32_e32 v10, 0xffff, v38
	v_or_b32_e32 v52, 0x600, v43
	v_or_b32_e32 v53, 0x680, v43
	v_and_b32_e32 v9, 0xffff, v9
	v_or_b32_e32 v58, 0x700, v43
	v_mul_u32_u24_e32 v56, 0x8889, v10
	v_and_b32_e32 v10, 0xffff, v39
	v_lshrrev_b16 v89, 14, v90
	v_lshlrev_b32_e32 v102, 3, v9
	v_and_b32_e32 v9, 0xffff, v53
	v_lshrrev_b32_e32 v101, 21, v56
	v_mul_u32_u24_e32 v57, 0x8889, v10
	v_and_b32_e32 v10, 0xffff, v40
	global_load_b64 v[23:24], v102, s[8:9] offset:400
	v_mul_u32_u24_e32 v61, 0x8889, v9
	v_mul_lo_u16 v19, v101, 60
	v_lshrrev_b32_e32 v103, 21, v57
	v_mul_u32_u24_e32 v59, 0x8889, v10
	v_lshrrev_b32_e32 v81, 22, v92
	v_lshrrev_b32_e32 v112, 21, v61
	v_sub_nc_u16 v10, v38, v19
	v_and_b32_e32 v19, 0xffff, v52
	v_mul_lo_u16 v20, v103, 60
	v_lshrrev_b32_e32 v104, 21, v59
	v_mul_u32_u24_e32 v116, 0x3c0, v82
	v_and_b32_e32 v10, 0xffff, v10
	v_mul_u32_u24_e32 v60, 0x8889, v19
	v_sub_nc_u16 v19, v39, v20
	v_mul_lo_u16 v20, v104, 60
	v_lshrrev_b32_e32 v88, 22, v74
	v_lshlrev_b32_e32 v106, 3, v10
	v_lshrrev_b32_e32 v105, 21, v60
	v_and_b32_e32 v9, 0xffff, v19
	v_and_b32_e32 v19, 0xffff, v58
	v_sub_nc_u16 v20, v40, v20
	global_load_b64 v[29:30], v106, s[8:9] offset:400
	v_mul_lo_u16 v10, v105, 60
	v_lshlrev_b32_e32 v107, 3, v9
	v_mul_u32_u24_e32 v73, 0x8889, v19
	v_and_b32_e32 v19, 0xffff, v20
	v_lshrrev_b32_e32 v82, 22, v76
	v_sub_nc_u16 v9, v52, v10
	global_load_b64 v[27:28], v107, s[8:9] offset:400
	v_mul_lo_u16 v10, v112, 60
	v_lshlrev_b32_e32 v108, 3, v19
	v_lshrrev_b32_e32 v113, 21, v73
	v_and_b32_e32 v9, 0xffff, v9
	v_mul_lo_u16 v117, 0x78, v88
	v_sub_nc_u16 v10, v53, v10
	v_mul_u32_u24_e32 v118, 0x3c0, v112
	v_mul_u32_u24_e32 v119, 0x3c0, v113
	v_lshlrev_b32_e32 v109, 3, v9
	s_clause 0x1
	global_load_b64 v[31:32], v108, s[8:9] offset:400
	global_load_b64 v[21:22], v109, s[8:9] offset:400
	v_and_b32_e32 v10, 0xffff, v10
	v_mul_lo_u16 v9, v113, 60
	v_mul_lo_u16 v112, 0x78, v82
	v_mul_u32_u24_e32 v98, 0x3c0, v98
	v_mul_u32_u24_e32 v101, 0x3c0, v101
	v_lshlrev_b32_e32 v110, 3, v10
	v_sub_nc_u16 v9, v58, v9
	v_mov_b32_e32 v10, v44
	v_mul_u32_u24_e32 v103, 0x3c0, v103
	v_sub_nc_u16 v133, v66, v117
	global_load_b64 v[25:26], v110, s[8:9] offset:400
	v_and_b32_e32 v9, 0xffff, v9
	v_sub_nc_u16 v134, v68, v112
	v_add3_u32 v137, 0, v116, v100
	v_add3_u32 v140, 0, v98, v102
	;; [unrolled: 1-line block ×3, first 2 shown]
	v_lshlrev_b32_e32 v111, 3, v9
	v_add_nc_u32_e32 v9, 0xffffff88, v43
	v_add3_u32 v142, 0, v103, v107
	ds_load_2addr_stride64_b64 v[100:103], v62 offset0:38 offset1:40
	v_mul_u32_u24_e32 v84, 0x3c0, v84
	global_load_b64 v[19:20], v111, s[8:9] offset:400
	s_wait_alu 0xf1ff
	v_cndmask_b32_e64 v9, v9, v43, s0
	v_mul_u32_u24_e32 v35, 0x3c0, v35
	v_add3_u32 v138, 0, v85, v79
	v_add3_u32 v86, 0, v86, v33
	;; [unrolled: 1-line block ×3, first 2 shown]
	v_lshlrev_b64_e32 v[114:115], 3, v[9:10]
	v_and_b32_e32 v10, 0xffff, v91
	v_mul_u32_u24_e32 v104, 0x3c0, v104
	v_mul_u32_u24_e32 v105, 0x3c0, v105
	v_add3_u32 v145, 0, v118, v110
	v_add3_u32 v146, 0, v119, v111
	v_add_co_u32 v128, s0, s8, v114
	s_wait_alu 0xf1ff
	v_add_co_ci_u32_e64 v129, s0, s9, v115, s0
	v_mul_lo_u16 v115, 0x78, v89
	v_mul_lo_u16 v114, 0x78, v81
	v_mul_u32_u24_e32 v10, 0x3c0, v10
	v_add3_u32 v143, 0, v104, v108
	v_add3_u32 v144, 0, v105, v109
	v_sub_nc_u16 v113, v67, v115
	v_sub_nc_u16 v69, v69, v114
	v_add3_u32 v136, 0, v10, v78
	v_mul_u32_u24_e32 v37, 0x3c0, v37
	v_lshlrev_b32_e32 v9, 3, v9
	v_and_b32_e32 v117, 0xff, v113
	ds_load_2addr_stride64_b64 v[112:115], v62 offset0:30 offset1:32
	v_and_b32_e32 v135, 0xffff, v69
	v_add3_u32 v37, 0, v37, v97
	v_and_b32_e32 v89, 0xffff, v89
	v_lshlrev_b32_e32 v69, 3, v117
	v_lshrrev_b32_e32 v83, 22, v75
	v_lshrrev_b32_e32 v96, 17, v55
	;; [unrolled: 1-line block ×5, first 2 shown]
	v_mul_lo_u16 v131, 0x78, v83
	v_mul_lo_u16 v130, 0x78, v96
	v_lshrrev_b32_e32 v92, 22, v57
	v_lshrrev_b32_e32 v93, 22, v59
	v_mul_lo_u16 v132, 0x78, v87
	v_lshrrev_b32_e32 v95, 22, v60
	v_lshrrev_b32_e32 v99, 22, v61
	v_cmp_lt_u32_e64 s0, 0x77, v43
	v_mul_u32_u24_e32 v81, 0x780, v81
	v_mul_u32_u24_e32 v88, 0x780, v88
	;; [unrolled: 1-line block ×4, first 2 shown]
	v_lshrrev_b32_e32 v77, 23, v77
	v_mul_u32_u24_e32 v89, 0x780, v89
	s_delay_alu instid0(VALU_DEP_2)
	v_mul_lo_u16 v77, 0xf0, v77
	s_wait_loadcnt_dscnt 0xe00
	v_mul_f32_e32 v10, v8, v113
	v_mul_f32_e32 v78, v8, v112
	s_wait_loadcnt 0xd
	v_mul_f32_e32 v8, v6, v115
	v_mul_f32_e32 v79, v6, v114
	v_add3_u32 v80, 0, v80, v34
	v_fma_f32 v84, v7, v112, -v10
	s_delay_alu instid0(VALU_DEP_4) | instskip(NEXT) | instid1(VALU_DEP_4)
	v_fma_f32 v85, v5, v114, -v8
	v_fmac_f32_e32 v79, v5, v115
	s_wait_loadcnt 0x9
	v_mul_f32_e32 v5, v103, v16
	v_add3_u32 v94, 0, v35, v94
	ds_load_2addr_stride64_b64 v[33:36], v62 offset0:34 offset1:36
	ds_load_2addr_stride64_b64 v[104:107], v62 offset0:42 offset1:44
	;; [unrolled: 1-line block ×5, first 2 shown]
	v_fmac_f32_e32 v78, v7, v113
	ds_load_2addr_stride64_b64 v[124:127], v62 offset1:2
	v_mul_f32_e32 v115, v102, v16
	s_delay_alu instid0(VALU_DEP_1)
	v_fmac_f32_e32 v115, v103, v15
	s_wait_loadcnt_dscnt 0x704
	v_mul_f32_e32 v147, v106, v12
	v_mul_f32_e32 v6, v34, v4
	v_dual_mul_f32 v97, v33, v4 :: v_dual_mul_f32 v4, v36, v2
	s_wait_loadcnt_dscnt 0x603
	v_dual_mul_f32 v98, v35, v2 :: v_dual_mul_f32 v103, v108, v24
	s_delay_alu instid0(VALU_DEP_3) | instskip(SKIP_2) | instid1(VALU_DEP_4)
	v_fma_f32 v113, v33, v3, -v6
	v_mul_f32_e32 v112, v100, v18
	v_dual_mul_f32 v6, v105, v14 :: v_dual_fmac_f32 v97, v34, v3
	v_fmac_f32_e32 v103, v109, v23
	s_delay_alu instid0(VALU_DEP_3)
	v_dual_fmac_f32 v147, v107, v11 :: v_dual_fmac_f32 v112, v101, v17
	v_mul_f32_e32 v2, v101, v18
	v_fma_f32 v101, v102, v15, -v5
	v_dual_mul_f32 v102, v104, v14 :: v_dual_mul_f32 v5, v107, v12
	s_wait_loadcnt 0x5
	v_mul_f32_e32 v14, v111, v30
	v_fma_f32 v104, v104, v13, -v6
	s_delay_alu instid0(VALU_DEP_3) | instskip(SKIP_1) | instid1(VALU_DEP_4)
	v_dual_fmac_f32 v102, v105, v13 :: v_dual_mul_f32 v105, v110, v30
	v_fma_f32 v148, v106, v11, -v5
	v_fma_f32 v107, v110, v29, -v14
	s_wait_loadcnt_dscnt 0x400
	v_dual_mul_f32 v15, v117, v28 :: v_dual_sub_f32 v30, v127, v79
	v_dual_fmac_f32 v105, v111, v29 :: v_dual_mul_f32 v10, v109, v24
	v_sub_f32_e32 v29, v126, v85
	s_delay_alu instid0(VALU_DEP_3) | instskip(NEXT) | instid1(VALU_DEP_3)
	v_fma_f32 v111, v116, v27, -v15
	v_fma_f32 v106, v108, v23, -v10
	s_wait_loadcnt 0x3
	v_mul_f32_e32 v109, v118, v32
	s_delay_alu instid0(VALU_DEP_1) | instskip(SKIP_1) | instid1(VALU_DEP_1)
	v_dual_fmac_f32 v109, v119, v31 :: v_dual_mul_f32 v108, v116, v28
	s_wait_loadcnt 0x1
	v_dual_fmac_f32 v108, v117, v27 :: v_dual_mul_f32 v117, v122, v26
	v_dual_fmac_f32 v98, v36, v1 :: v_dual_mul_f32 v27, v123, v26
	s_delay_alu instid0(VALU_DEP_2)
	v_fmac_f32_e32 v117, v123, v25
	v_fma_f32 v114, v35, v1, -v4
	ds_load_b64 v[33:34], v63
	ds_load_b64 v[35:36], v62 offset:29696
	ds_load_2addr_stride64_b64 v[5:8], v62 offset0:8 offset1:10
	v_mul_f32_e32 v14, v119, v32
	ds_load_2addr_stride64_b64 v[10:13], v62 offset0:12 offset1:16
	v_fma_f32 v119, v122, v25, -v27
	ds_load_2addr_stride64_b64 v[25:28], v62 offset0:26 offset1:28
	v_mul_f32_e32 v18, v121, v22
	v_fma_f32 v116, v118, v31, -v14
	s_delay_alu instid0(VALU_DEP_2)
	v_fma_f32 v118, v120, v21, -v18
	s_wait_loadcnt_dscnt 0x3
	v_mul_f32_e32 v18, v36, v20
	s_wait_dscnt 0x2
	v_sub_f32_e32 v79, v6, v112
	v_fma_f32 v100, v100, v17, -v2
	ds_load_2addr_stride64_b64 v[14:17], v62 offset0:18 offset1:20
	v_mul_f32_e32 v110, v120, v22
	ds_load_2addr_stride64_b64 v[1:4], v62 offset0:4 offset1:6
	v_fma_f32 v120, v35, v19, -v18
	v_sub_f32_e32 v18, v124, v84
	s_wait_dscnt 0x3
	v_dual_sub_f32 v84, v7, v101 :: v_dual_sub_f32 v101, v13, v103
	v_dual_mul_f32 v20, v35, v20 :: v_dual_sub_f32 v85, v8, v115
	s_wait_dscnt 0x2
	v_dual_sub_f32 v112, v27, v120 :: v_dual_sub_f32 v115, v34, v147
	v_fma_f32 v6, v6, 2.0, -v79
	s_delay_alu instid0(VALU_DEP_3)
	v_dual_fmac_f32 v20, v36, v19 :: v_dual_sub_f32 v19, v125, v78
	v_sub_f32_e32 v78, v5, v100
	v_sub_f32_e32 v100, v12, v106
	v_fma_f32 v7, v7, 2.0, -v84
	v_fma_f32 v8, v8, 2.0, -v85
	;; [unrolled: 1-line block ×4, first 2 shown]
	s_wait_dscnt 0x1
	v_sub_f32_e32 v103, v15, v105
	v_sub_f32_e32 v105, v17, v108
	v_fmac_f32_e32 v110, v121, v21
	ds_load_2addr_stride64_b64 v[21:24], v62 offset0:22 offset1:24
	s_wait_dscnt 0x1
	v_sub_f32_e32 v31, v1, v113
	v_dual_sub_f32 v32, v2, v97 :: v_dual_sub_f32 v35, v3, v114
	v_sub_f32_e32 v36, v4, v98
	v_sub_f32_e32 v98, v11, v102
	;; [unrolled: 1-line block ×3, first 2 shown]
	v_dual_sub_f32 v97, v10, v104 :: v_dual_sub_f32 v104, v16, v111
	v_sub_f32_e32 v111, v26, v117
	v_sub_f32_e32 v113, v28, v20
	;; [unrolled: 1-line block ×3, first 2 shown]
	v_fma_f32 v117, v125, 2.0, -v19
	v_fma_f32 v1, v1, 2.0, -v31
	;; [unrolled: 1-line block ×7, first 2 shown]
	global_wb scope:SCOPE_SE
	s_wait_dscnt 0x0
	v_dual_sub_f32 v106, v21, v116 :: v_dual_sub_f32 v107, v22, v109
	v_sub_f32_e32 v108, v23, v118
	v_dual_sub_f32 v109, v24, v110 :: v_dual_sub_f32 v110, v25, v119
	v_fma_f32 v116, v124, 2.0, -v18
	v_fma_f32 v118, v126, 2.0, -v29
	;; [unrolled: 1-line block ×5, first 2 shown]
	s_barrier_signal -1
	s_barrier_wait -1
	global_inv scope:SCOPE_SE
	v_fma_f32 v10, v10, 2.0, -v97
	v_fma_f32 v11, v11, 2.0, -v98
	;; [unrolled: 1-line block ×13, first 2 shown]
	ds_store_2addr_b64 v136, v[116:117], v[18:19] offset1:60
	ds_store_2addr_b64 v138, v[118:119], v[29:30] offset1:60
	;; [unrolled: 1-line block ×15, first 2 shown]
	global_wb scope:SCOPE_SE
	s_wait_dscnt 0x0
	s_barrier_signal -1
	s_barrier_wait -1
	global_inv scope:SCOPE_SE
	s_clause 0x1
	global_load_b64 v[20:21], v[128:129], off offset:880
	global_load_b64 v[14:15], v69, s[8:9] offset:880
	v_and_b32_e32 v1, 0xffff, v133
	v_and_b32_e32 v3, 0xffff, v134
	v_lshlrev_b32_e32 v79, 3, v135
	v_sub_nc_u16 v2, v71, v131
	v_sub_nc_u16 v4, v72, v132
	v_lshlrev_b32_e32 v80, 3, v1
	v_lshlrev_b32_e32 v84, 3, v3
	global_load_b64 v[7:8], v79, s[8:9] offset:880
	v_sub_nc_u16 v1, v65, v130
	v_mul_lo_u16 v3, 0x78, v90
	s_clause 0x1
	global_load_b64 v[16:17], v80, s[8:9] offset:880
	global_load_b64 v[10:11], v84, s[8:9] offset:880
	v_and_b32_e32 v2, 0xffff, v2
	v_and_b32_e32 v1, 0xffff, v1
	v_sub_nc_u16 v3, v70, v3
	v_and_b32_e32 v4, 0xffff, v4
	v_lshrrev_b32_e32 v105, 22, v73
	v_lshlrev_b32_e32 v85, 3, v2
	v_mul_lo_u16 v2, 0x78, v91
	v_lshlrev_b32_e32 v94, 3, v1
	v_and_b32_e32 v1, 0xffff, v3
	v_mul_lo_u16 v3, 0x78, v92
	v_lshlrev_b32_e32 v86, 3, v4
	v_sub_nc_u16 v2, v38, v2
	global_load_b64 v[18:19], v85, s[8:9] offset:880
	v_lshlrev_b32_e32 v97, 3, v1
	v_mul_lo_u16 v1, 0x78, v93
	s_clause 0x1
	global_load_b64 v[12:13], v86, s[8:9] offset:880
	global_load_b64 v[30:31], v94, s[8:9] offset:880
	v_and_b32_e32 v2, 0xffff, v2
	v_sub_nc_u16 v3, v39, v3
	v_sub_nc_u16 v1, v40, v1
	v_mul_lo_u16 v4, 0x78, v99
	v_mul_lo_u16 v5, 0x78, v105
	v_lshlrev_b32_e32 v98, 3, v2
	v_mul_lo_u16 v2, 0x78, v95
	v_and_b32_e32 v3, 0xffff, v3
	v_and_b32_e32 v1, 0xffff, v1
	v_sub_nc_u16 v4, v53, v4
	global_load_b64 v[28:29], v97, s[8:9] offset:880
	v_sub_nc_u16 v2, v52, v2
	global_load_b64 v[34:35], v98, s[8:9] offset:880
	v_lshlrev_b32_e32 v100, 3, v3
	v_sub_nc_u16 v3, v58, v5
	v_lshlrev_b32_e32 v101, 3, v1
	v_and_b32_e32 v2, 0xffff, v2
	v_and_b32_e32 v1, 0xffff, v4
	global_load_b64 v[36:37], v100, s[8:9] offset:880
	v_and_b32_e32 v3, 0xffff, v3
	global_load_b64 v[32:33], v101, s[8:9] offset:880
	v_lshlrev_b32_e32 v102, 3, v2
	v_lshlrev_b32_e32 v103, 3, v1
	v_add_nc_u32_e32 v1, 0xffffff90, v43
	s_wait_alu 0xf1ff
	v_cndmask_b32_e64 v108, 0, 0x780, s0
	v_cmp_gt_u32_e64 s0, 0xf0, v67
	global_load_b64 v[24:25], v102, s[8:9] offset:880
	v_lshlrev_b32_e32 v104, 3, v3
	s_clause 0x1
	global_load_b64 v[26:27], v103, s[8:9] offset:880
	global_load_b64 v[22:23], v104, s[8:9] offset:880
	v_mov_b32_e32 v6, v44
	s_wait_alu 0xf1ff
	v_cndmask_b32_e64 v5, v1, v67, s0
	v_add_co_u32 v1, s0, s8, v50
	s_wait_alu 0xf1ff
	v_add_co_ci_u32_e64 v2, s0, s9, v51, s0
	s_delay_alu instid0(VALU_DEP_3)
	v_lshlrev_b64_e32 v[106:107], 3, v[5:6]
	v_add_co_u32 v3, s0, s8, v48
	v_lshrrev_b32_e32 v6, 23, v76
	v_lshrrev_b32_e32 v48, 23, v74
	s_wait_alu 0xf1ff
	v_add_co_ci_u32_e64 v4, s0, s9, v49, s0
	v_lshrrev_b32_e32 v49, 23, v75
	v_add_co_u32 v75, s0, s8, v106
	v_mul_lo_u16 v6, 0xf0, v6
	v_mul_u32_u24_e32 v106, 0x780, v82
	v_mul_lo_u16 v82, 0xf0, v48
	v_add3_u32 v129, 0, v81, v79
	v_add3_u32 v130, 0, v88, v80
	v_sub_nc_u16 v6, v68, v6
	v_add3_u32 v132, 0, v83, v85
	v_sub_nc_u16 v68, v66, v82
	ds_load_2addr_stride64_b64 v[79:82], v62 offset0:30 offset1:32
	v_lshrrev_b32_e32 v78, 18, v55
	v_and_b32_e32 v124, 0xffff, v6
	v_add3_u32 v115, 0, v108, v9
	v_mul_u32_u24_e32 v9, 0x780, v96
	v_lshrrev_b32_e32 v108, 23, v54
	v_mul_lo_u16 v96, 0xf0, v78
	v_lshrrev_b32_e32 v109, 23, v57
	v_lshrrev_b32_e32 v110, 23, v60
	s_wait_alu 0xf1ff
	v_add_co_ci_u32_e64 v76, s0, s9, v107, s0
	v_mul_lo_u16 v107, 0xf0, v49
	v_mul_u32_u24_e32 v90, 0x780, v90
	v_mul_u32_u24_e32 v91, 0x780, v91
	;; [unrolled: 1-line block ×7, first 2 shown]
	v_sub_nc_u16 v96, v65, v96
	v_mul_lo_u16 v108, 0xf0, v108
	v_mul_lo_u16 v109, 0xf0, v109
	v_mul_lo_u16 v110, 0xf0, v110
	v_sub_nc_u16 v71, v71, v107
	v_sub_nc_u16 v72, v72, v77
	v_and_b32_e32 v77, 0xffff, v96
	v_sub_nc_u16 v117, v70, v108
	v_sub_nc_u16 v119, v39, v109
	;; [unrolled: 1-line block ×3, first 2 shown]
	v_and_b32_e32 v123, 0xffff, v68
	v_and_b32_e32 v125, 0xffff, v71
	;; [unrolled: 1-line block ×3, first 2 shown]
	v_add3_u32 v128, 0, v89, v69
	v_add3_u32 v134, 0, v90, v97
	;; [unrolled: 1-line block ×7, first 2 shown]
	v_lshrrev_b32_e32 v50, 23, v56
	v_lshrrev_b32_e32 v51, 23, v59
	;; [unrolled: 1-line block ×4, first 2 shown]
	v_add_nc_u32_e32 v43, 0xffffffa0, v43
	v_mul_lo_u16 v112, 0xf0, v50
	v_mul_lo_u16 v113, 0xf0, v51
	;; [unrolled: 1-line block ×4, first 2 shown]
	v_lshlrev_b32_e32 v5, 3, v5
	v_sub_nc_u16 v118, v38, v112
	v_sub_nc_u16 v120, v40, v113
	;; [unrolled: 1-line block ×3, first 2 shown]
	v_cmp_lt_u32_e64 s0, 0xef, v67
	v_lshrrev_b32_e32 v57, 24, v57
	v_mul_u32_u24_e32 v67, 0xf00, v78
	v_lshrrev_b32_e32 v54, 24, v54
	v_lshrrev_b32_e32 v56, 24, v56
	s_delay_alu instid0(VALU_DEP_4) | instskip(NEXT) | instid1(VALU_DEP_3)
	v_mul_lo_u16 v57, 0x1e0, v57
	v_mul_lo_u16 v54, 0x1e0, v54
	s_delay_alu instid0(VALU_DEP_3) | instskip(NEXT) | instid1(VALU_DEP_3)
	v_mul_lo_u16 v56, 0x1e0, v56
	v_sub_nc_u16 v39, v39, v57
	s_delay_alu instid0(VALU_DEP_3) | instskip(NEXT) | instid1(VALU_DEP_3)
	v_sub_nc_u16 v54, v70, v54
	v_sub_nc_u16 v56, v38, v56
	s_wait_loadcnt_dscnt 0xe00
	v_mul_f32_e32 v6, v21, v80
	v_mul_f32_e32 v21, v21, v79
	s_wait_loadcnt 0xd
	v_mul_f32_e32 v141, v15, v81
	s_delay_alu instid0(VALU_DEP_3) | instskip(NEXT) | instid1(VALU_DEP_3)
	v_fma_f32 v142, v20, v79, -v6
	v_fmac_f32_e32 v21, v20, v80
	v_add3_u32 v131, 0, v106, v84
	s_delay_alu instid0(VALU_DEP_4)
	v_fmac_f32_e32 v141, v14, v82
	v_add3_u32 v133, 0, v87, v86
	ds_load_2addr_stride64_b64 v[83:86], v62 offset0:34 offset1:36
	s_wait_loadcnt_dscnt 0xc00
	v_mul_f32_e32 v143, v8, v83
	s_wait_loadcnt 0xb
	v_mul_f32_e32 v145, v85, v17
	s_delay_alu instid0(VALU_DEP_2) | instskip(SKIP_1) | instid1(VALU_DEP_3)
	v_fmac_f32_e32 v143, v7, v84
	v_add3_u32 v127, 0, v9, v94
	v_fmac_f32_e32 v145, v86, v16
	v_add3_u32 v135, 0, v91, v98
	ds_load_2addr_stride64_b64 v[87:90], v62 offset0:38 offset1:40
	ds_load_2addr_stride64_b64 v[91:94], v62 offset0:42 offset1:44
	;; [unrolled: 1-line block ×5, first 2 shown]
	ds_load_2addr_stride64_b64 v[107:110], v62 offset1:2
	ds_load_b64 v[68:69], v63
	ds_load_b64 v[71:72], v62 offset:29696
	v_dual_mul_f32 v9, v15, v82 :: v_dual_mul_f32 v6, v8, v84
	v_mul_f32_e32 v8, v86, v17
	ds_load_2addr_stride64_b64 v[111:114], v62 offset0:4 offset1:6
	v_fma_f32 v144, v14, v81, -v9
	ds_load_2addr_stride64_b64 v[79:82], v62 offset0:8 offset1:10
	s_wait_loadcnt_dscnt 0xa09
	v_mul_f32_e32 v14, v88, v11
	v_mul_f32_e32 v84, v87, v11
	s_wait_loadcnt 0x9
	v_mul_f32_e32 v11, v90, v19
	v_mul_f32_e32 v86, v89, v19
	s_wait_loadcnt_dscnt 0x708
	v_mul_f32_e32 v146, v93, v31
	v_fma_f32 v87, v87, v10, -v14
	v_fmac_f32_e32 v84, v88, v10
	v_fma_f32 v89, v89, v18, -v11
	v_dual_mul_f32 v11, v94, v31 :: v_dual_mul_f32 v10, v92, v13
	v_mul_f32_e32 v88, v91, v13
	v_fmac_f32_e32 v86, v90, v18
	ds_load_2addr_stride64_b64 v[17:20], v62 offset0:22 offset1:24
	v_fma_f32 v147, v93, v30, -v11
	s_wait_loadcnt_dscnt 0x508
	v_mul_f32_e32 v11, v98, v35
	v_fma_f32 v90, v91, v12, -v10
	v_dual_mul_f32 v10, v96, v29 :: v_dual_mul_f32 v91, v97, v35
	v_fmac_f32_e32 v88, v92, v12
	s_delay_alu instid0(VALU_DEP_4)
	v_fma_f32 v93, v97, v34, -v11
	s_wait_loadcnt_dscnt 0x307
	v_mul_f32_e32 v11, v102, v33
	v_fma_f32 v92, v95, v28, -v10
	v_fmac_f32_e32 v91, v98, v34
	s_wait_loadcnt_dscnt 0x206
	v_mul_f32_e32 v97, v103, v25
	s_wait_dscnt 0x1
	v_sub_f32_e32 v34, v81, v89
	v_fma_f32 v98, v101, v32, -v11
	s_wait_loadcnt 0x1
	v_dual_mul_f32 v11, v106, v27 :: v_dual_mul_f32 v12, v95, v29
	v_mul_f32_e32 v95, v101, v33
	v_sub_f32_e32 v33, v80, v84
	v_fma_f32 v83, v7, v83, -v6
	v_mul_f32_e32 v27, v105, v27
	v_fma_f32 v85, v85, v16, -v8
	ds_load_2addr_stride64_b64 v[6:9], v62 offset0:12 offset1:16
	ds_load_2addr_stride64_b64 v[13:16], v62 offset0:18 offset1:20
	v_fmac_f32_e32 v146, v94, v30
	v_fma_f32 v101, v105, v26, -v11
	v_sub_f32_e32 v11, v108, v21
	v_dual_fmac_f32 v12, v96, v28 :: v_dual_sub_f32 v35, v82, v86
	ds_load_2addr_stride64_b64 v[28:31], v62 offset0:26 offset1:28
	v_mul_f32_e32 v10, v100, v37
	v_dual_mul_f32 v94, v99, v37 :: v_dual_fmac_f32 v95, v102, v32
	v_fmac_f32_e32 v27, v106, v26
	v_fmac_f32_e32 v97, v104, v24
	s_delay_alu instid0(VALU_DEP_4)
	v_fma_f32 v96, v99, v36, -v10
	v_mul_f32_e32 v10, v104, v25
	s_wait_loadcnt 0x0
	v_mul_f32_e32 v25, v72, v23
	v_mul_f32_e32 v99, v71, v23
	v_sub_f32_e32 v21, v109, v144
	v_dual_sub_f32 v23, v111, v83 :: v_dual_sub_f32 v26, v114, v145
	s_delay_alu instid0(VALU_DEP_4)
	v_fma_f32 v102, v71, v22, -v25
	s_wait_dscnt 0x2
	v_sub_f32_e32 v71, v8, v92
	s_wait_dscnt 0x1
	v_dual_fmac_f32 v94, v100, v36 :: v_dual_sub_f32 v83, v13, v93
	v_fmac_f32_e32 v99, v72, v22
	v_sub_f32_e32 v25, v113, v85
	v_sub_f32_e32 v85, v15, v96
	v_fma_f32 v100, v103, v24, -v10
	v_sub_f32_e32 v10, v107, v142
	v_sub_f32_e32 v22, v110, v141
	;; [unrolled: 1-line block ×3, first 2 shown]
	s_wait_dscnt 0x0
	v_dual_sub_f32 v32, v79, v87 :: v_dual_sub_f32 v93, v30, v102
	v_dual_sub_f32 v37, v7, v88 :: v_dual_sub_f32 v84, v14, v91
	v_sub_f32_e32 v86, v16, v94
	v_dual_sub_f32 v87, v17, v98 :: v_dual_sub_f32 v88, v18, v95
	v_dual_sub_f32 v91, v28, v101 :: v_dual_sub_f32 v92, v29, v27
	;; [unrolled: 1-line block ×3, first 2 shown]
	v_sub_f32_e32 v36, v6, v90
	v_sub_f32_e32 v72, v9, v12
	v_dual_sub_f32 v89, v19, v100 :: v_dual_sub_f32 v90, v20, v97
	v_sub_f32_e32 v94, v31, v99
	v_fma_f32 v97, v107, 2.0, -v10
	v_fma_f32 v98, v108, 2.0, -v11
	;; [unrolled: 1-line block ×20, first 2 shown]
	global_wb scope:SCOPE_SE
	s_barrier_signal -1
	s_barrier_wait -1
	global_inv scope:SCOPE_SE
	v_fma_f32 v81, v81, 2.0, -v34
	v_fma_f32 v82, v82, 2.0, -v35
	;; [unrolled: 1-line block ×10, first 2 shown]
	ds_store_2addr_b64 v115, v[97:98], v[10:11] offset1:120
	ds_store_2addr_b64 v128, v[99:100], v[21:22] offset1:120
	;; [unrolled: 1-line block ×15, first 2 shown]
	global_wb scope:SCOPE_SE
	s_wait_dscnt 0x0
	s_barrier_signal -1
	s_barrier_wait -1
	global_inv scope:SCOPE_SE
	s_clause 0x1
	global_load_b64 v[34:35], v[1:2], off offset:1840
	global_load_b64 v[28:29], v[3:4], off offset:1968
	v_lshlrev_b32_e32 v69, 3, v123
	global_load_b64 v[32:33], v[75:76], off offset:1840
	v_lshlrev_b32_e32 v68, 3, v124
	v_lshlrev_b32_e32 v71, 3, v125
	v_and_b32_e32 v12, 0xffff, v117
	v_lshlrev_b32_e32 v72, 3, v126
	v_and_b32_e32 v13, 0xffff, v118
	v_and_b32_e32 v16, 0xffff, v119
	s_clause 0x3
	global_load_b64 v[20:21], v69, s[8:9] offset:1840
	global_load_b64 v[6:7], v71, s[8:9] offset:1840
	;; [unrolled: 1-line block ×4, first 2 shown]
	v_lshlrev_b32_e32 v76, 3, v77
	v_lshlrev_b32_e32 v75, 3, v12
	v_and_b32_e32 v18, 0xffff, v120
	v_lshlrev_b32_e32 v79, 3, v13
	v_and_b32_e32 v22, 0xffff, v121
	v_lshlrev_b32_e32 v77, 3, v16
	v_sub_nc_u16 v23, v58, v116
	v_and_b32_e32 v24, 0xffff, v122
	s_clause 0x1
	global_load_b64 v[12:13], v76, s[8:9] offset:1840
	global_load_b64 v[16:17], v79, s[8:9] offset:1840
	v_lshlrev_b32_e32 v82, 3, v18
	s_clause 0x1
	global_load_b64 v[18:19], v77, s[8:9] offset:1840
	global_load_b64 v[14:15], v75, s[8:9] offset:1840
	v_lshlrev_b32_e32 v80, 3, v22
	v_and_b32_e32 v22, 0xffff, v23
	v_lshlrev_b32_e32 v81, 3, v24
	s_clause 0x1
	global_load_b64 v[30:31], v82, s[8:9] offset:1840
	global_load_b64 v[24:25], v80, s[8:9] offset:1840
	v_lshrrev_b32_e32 v36, 19, v55
	v_lshlrev_b32_e32 v83, 3, v22
	s_clause 0x1
	global_load_b64 v[26:27], v81, s[8:9] offset:1840
	global_load_b64 v[22:23], v83, s[8:9] offset:1840
	s_wait_alu 0xf1ff
	v_cndmask_b32_e64 v55, 0, 0xf00, s0
	v_mul_lo_u16 v78, 0x1e0, v36
	v_lshrrev_b32_e32 v37, 24, v59
	v_lshrrev_b32_e32 v59, 24, v60
	;; [unrolled: 1-line block ×4, first 2 shown]
	v_add3_u32 v115, 0, v55, v5
	v_mul_u32_u24_e32 v5, 0xf00, v48
	v_mul_u32_u24_e32 v48, 0xf00, v49
	;; [unrolled: 1-line block ×4, first 2 shown]
	v_sub_nc_u16 v55, v65, v78
	v_mul_lo_u16 v73, 0x1e0, v37
	v_mul_u32_u24_e32 v51, 0xf00, v74
	v_mul_lo_u16 v59, 0x1e0, v59
	v_mul_lo_u16 v74, 0x1e0, v60
	;; [unrolled: 1-line block ×3, first 2 shown]
	v_and_b32_e32 v55, 0xffff, v55
	v_sub_nc_u16 v116, v40, v73
	v_and_b32_e32 v122, 0xffff, v39
	v_add3_u32 v125, 0, v48, v71
	v_add3_u32 v126, 0, v49, v79
	v_add3_u32 v127, 0, v50, v82
	v_add_nc_u32_e32 v39, 0, v72
	v_add_nc_u32_e32 v40, 0, v75
	;; [unrolled: 1-line block ×5, first 2 shown]
	v_sub_nc_u16 v117, v52, v59
	v_sub_nc_u16 v118, v53, v74
	;; [unrolled: 1-line block ×3, first 2 shown]
	v_and_b32_e32 v120, 0xffff, v54
	v_lshlrev_b32_e32 v38, 3, v55
	v_and_b32_e32 v121, 0xffff, v56
	v_add3_u32 v123, 0, v67, v76
	v_add3_u32 v124, 0, v5, v69
	v_add_nc_u32_e32 v5, 0, v68
	v_add3_u32 v128, 0, v51, v81
	v_add_nc_u32_e32 v129, 0x2d00, v39
	v_add_nc_u32_e32 v130, 0x3c00, v40
	;; [unrolled: 1-line block ×5, first 2 shown]
	ds_load_2addr_stride64_b64 v[48:51], v62 offset0:30 offset1:32
	ds_load_2addr_stride64_b64 v[52:55], v62 offset0:34 offset1:36
	;; [unrolled: 1-line block ×7, first 2 shown]
	ds_load_2addr_stride64_b64 v[85:88], v62 offset1:2
	ds_load_2addr_stride64_b64 v[89:92], v62 offset0:4 offset1:6
	ds_load_2addr_stride64_b64 v[93:96], v62 offset0:8 offset1:10
	;; [unrolled: 1-line block ×6, first 2 shown]
	ds_load_b64 v[39:40], v62 offset:29696
	ds_load_b64 v[113:114], v63
	v_cmp_gt_u32_e64 s0, 0x1e0, v66
	global_wb scope:SCOPE_SE
	s_wait_loadcnt_dscnt 0x0
	s_barrier_signal -1
	s_barrier_wait -1
	global_inv scope:SCOPE_SE
	s_wait_alu 0xf1ff
	v_cndmask_b32_e64 v43, v43, v66, s0
	v_mul_u32_u24_e32 v36, 0x1e00, v36
	v_mul_u32_u24_e32 v37, 0x1e00, v37
	s_delay_alu instid0(VALU_DEP_3) | instskip(SKIP_4) | instid1(VALU_DEP_3)
	v_lshlrev_b64_e32 v[60:61], 3, v[43:44]
	v_mul_f32_e32 v135, v29, v53
	v_mul_f32_e32 v29, v29, v52
	;; [unrolled: 1-line block ×4, first 2 shown]
	v_dual_fmac_f32 v29, v28, v53 :: v_dual_add_nc_u32 v84, 0xf80, v62
	s_delay_alu instid0(VALU_DEP_2)
	v_dual_fmac_f32 v33, v32, v51 :: v_dual_mul_f32 v136, v55, v21
	v_add_nc_u32_e32 v83, 0x1e00, v5
	v_mul_f32_e32 v5, v35, v49
	v_mul_f32_e32 v35, v35, v48
	;; [unrolled: 1-line block ×5, first 2 shown]
	v_fma_f32 v5, v34, v48, -v5
	v_fmac_f32_e32 v35, v34, v49
	v_mul_f32_e32 v34, v58, v7
	v_mul_f32_e32 v11, v59, v7
	;; [unrolled: 1-line block ×3, first 2 shown]
	v_fma_f32 v48, v32, v50, -v134
	v_mul_f32_e32 v32, v67, v9
	v_mul_f32_e32 v9, v70, v13
	v_dual_mul_f32 v49, v69, v13 :: v_dual_mul_f32 v50, v71, v15
	v_mul_f32_e32 v13, v72, v15
	v_mul_f32_e32 v15, v74, v17
	v_fma_f32 v51, v28, v52, -v135
	v_dual_mul_f32 v28, v73, v17 :: v_dual_mul_f32 v17, v76, v19
	v_fma_f32 v52, v54, v20, -v136
	v_fmac_f32_e32 v21, v55, v20
	v_mul_f32_e32 v53, v75, v19
	v_dual_mul_f32 v19, v78, v31 :: v_dual_fmac_f32 v138, v57, v10
	v_dual_mul_f32 v31, v77, v31 :: v_dual_fmac_f32 v34, v59, v6
	v_mul_f32_e32 v20, v80, v25
	v_dual_mul_f32 v54, v79, v25 :: v_dual_mul_f32 v25, v82, v27
	v_fmac_f32_e32 v32, v68, v8
	v_fma_f32 v55, v56, v10, -v137
	v_dual_mul_f32 v56, v81, v27 :: v_dual_fmac_f32 v53, v76, v18
	v_dual_mul_f32 v10, v40, v23 :: v_dual_fmac_f32 v31, v78, v30
	;; [unrolled: 1-line block ×3, first 2 shown]
	v_fma_f32 v27, v58, v6, -v11
	v_fma_f32 v23, v67, v8, -v7
	;; [unrolled: 1-line block ×3, first 2 shown]
	v_fmac_f32_e32 v49, v70, v12
	v_fma_f32 v59, v71, v14, -v13
	v_fma_f32 v67, v73, v16, -v15
	v_dual_fmac_f32 v28, v74, v16 :: v_dual_fmac_f32 v57, v40, v22
	v_fma_f32 v68, v75, v18, -v17
	v_fma_f32 v69, v77, v30, -v19
	;; [unrolled: 1-line block ×3, first 2 shown]
	v_dual_fmac_f32 v54, v80, v24 :: v_dual_sub_f32 v5, v85, v5
	v_fma_f32 v70, v81, v26, -v25
	v_dual_fmac_f32 v56, v82, v26 :: v_dual_sub_f32 v7, v87, v48
	v_fma_f32 v39, v39, v22, -v10
	v_dual_sub_f32 v6, v86, v35 :: v_dual_sub_f32 v11, v91, v52
	v_dual_sub_f32 v8, v88, v33 :: v_dual_sub_f32 v9, v89, v51
	;; [unrolled: 1-line block ×13, first 2 shown]
	v_sub_f32_e32 v32, v112, v57
	v_sub_f32_e32 v34, v114, v49
	v_fma_f32 v39, v85, 2.0, -v5
	v_fma_f32 v40, v86, 2.0, -v6
	;; [unrolled: 1-line block ×30, first 2 shown]
	ds_store_2addr_b64 v62, v[39:40], v[5:6] offset1:240
	ds_store_2addr_b64 v115, v[48:49], v[7:8] offset1:240
	;; [unrolled: 1-line block ×15, first 2 shown]
	v_and_b32_e32 v27, 0xffff, v118
	v_add_co_u32 v9, s0, s8, v60
	s_wait_alu 0xf1ff
	v_add_co_ci_u32_e64 v10, s0, s9, v61, s0
	v_and_b32_e32 v23, 0xffff, v116
	global_wb scope:SCOPE_SE
	s_wait_dscnt 0x0
	s_barrier_signal -1
	s_barrier_wait -1
	global_inv scope:SCOPE_SE
	s_clause 0x2
	global_load_b64 v[13:14], v[1:2], off offset:3760
	global_load_b64 v[5:6], v[3:4], off offset:4784
	;; [unrolled: 1-line block ×3, first 2 shown]
	v_and_b32_e32 v25, 0xffff, v117
	v_and_b32_e32 v29, 0xffff, v119
	s_clause 0x2
	global_load_b64 v[15:16], v[9:10], off offset:3760
	global_load_b64 v[9:10], v[3:4], off offset:5040
	;; [unrolled: 1-line block ×3, first 2 shown]
	v_lshlrev_b32_e32 v39, 3, v120
	v_lshlrev_b32_e32 v40, 3, v121
	;; [unrolled: 1-line block ×7, first 2 shown]
	s_clause 0x8
	global_load_b64 v[11:12], v38, s[8:9] offset:3760
	global_load_b64 v[19:20], v[3:4], off offset:6064
	global_load_b64 v[21:22], v39, s[8:9] offset:3760
	global_load_b64 v[23:24], v40, s[8:9] offset:3760
	global_load_b64 v[25:26], v48, s[8:9] offset:3760
	global_load_b64 v[27:28], v49, s[8:9] offset:3760
	global_load_b64 v[31:32], v50, s[8:9] offset:3760
	global_load_b64 v[33:34], v51, s[8:9] offset:3760
	global_load_b64 v[29:30], v52, s[8:9] offset:3760
	v_cmp_lt_u32_e64 s0, 0x1df, v66
	v_lshlrev_b32_e32 v54, 3, v43
	v_add3_u32 v110, 0, v36, v38
	v_add_nc_u32_e32 v111, 0, v39
	v_add_nc_u32_e32 v112, 0, v48
	s_wait_alu 0xf1ff
	v_cndmask_b32_e64 v53, 0, 0x1e00, s0
	v_cmp_gt_u32_e64 s0, 0x3c0, v65
	v_add3_u32 v113, 0, v37, v49
	v_add_nc_u32_e32 v114, 0, v50
	v_add_nc_u32_e32 v115, 0, v51
	;; [unrolled: 1-line block ×3, first 2 shown]
	s_wait_alu 0xf1ff
	v_cndmask_b32_e64 v43, v0, v65, s0
	v_add3_u32 v0, 0, v53, v54
	ds_load_2addr_stride64_b64 v[36:39], v62 offset0:30 offset1:32
	ds_load_2addr_stride64_b64 v[48:51], v62 offset0:34 offset1:36
	;; [unrolled: 1-line block ×3, first 2 shown]
	ds_load_2addr_stride64_b64 v[56:59], v62 offset1:2
	ds_load_2addr_stride64_b64 v[66:69], v62 offset0:4 offset1:6
	ds_load_2addr_stride64_b64 v[70:73], v62 offset0:8 offset1:10
	;; [unrolled: 1-line block ×8, first 2 shown]
	ds_load_b64 v[60:61], v63
	ds_load_b64 v[106:107], v62 offset:29696
	ds_load_2addr_stride64_b64 v[98:101], v62 offset0:22 offset1:24
	ds_load_2addr_stride64_b64 v[102:105], v62 offset0:26 offset1:28
	v_add_nc_u32_e32 v35, 0x800, v62
	v_add_nc_u32_e32 v109, 0x2700, v62
	;; [unrolled: 1-line block ×3, first 2 shown]
	global_wb scope:SCOPE_SE
	s_wait_loadcnt_dscnt 0x0
	s_barrier_signal -1
	s_barrier_wait -1
	global_inv scope:SCOPE_SE
	v_mul_f32_e32 v117, v14, v37
	v_mul_f32_e32 v14, v14, v36
	;; [unrolled: 1-line block ×3, first 2 shown]
	v_dual_mul_f32 v119, v6, v38 :: v_dual_add_nc_u32 v40, 0, v40
	v_mul_f32_e32 v6, v8, v49
	v_mul_f32_e32 v120, v8, v48
	;; [unrolled: 1-line block ×3, first 2 shown]
	v_dual_mul_f32 v16, v50, v16 :: v_dual_mul_f32 v121, v53, v18
	v_mul_f32_e32 v18, v52, v18
	v_mul_f32_e32 v122, v55, v10
	v_dual_mul_f32 v123, v54, v10 :: v_dual_mul_f32 v10, v79, v20
	v_fma_f32 v36, v13, v36, -v117
	v_dual_fmac_f32 v14, v13, v37 :: v_dual_mul_f32 v127, v87, v26
	s_delay_alu instid0(VALU_DEP_3)
	v_dual_mul_f32 v20, v78, v20 :: v_dual_fmac_f32 v123, v55, v9
	v_mul_f32_e32 v13, v107, v30
	v_mul_f32_e32 v37, v106, v30
	v_fma_f32 v30, v5, v38, -v118
	v_mul_f32_e32 v126, v85, v24
	v_mul_f32_e32 v124, v81, v12
	;; [unrolled: 1-line block ×3, first 2 shown]
	v_fmac_f32_e32 v37, v107, v29
	v_dual_mul_f32 v125, v80, v12 :: v_dual_mul_f32 v12, v83, v22
	v_dual_mul_f32 v22, v82, v22 :: v_dual_fmac_f32 v119, v5, v39
	v_sub_f32_e32 v5, v56, v36
	v_fma_f32 v38, v7, v48, -v6
	v_mul_f32_e32 v24, v84, v24
	v_fma_f32 v39, v50, v15, -v8
	v_mul_f32_e32 v26, v86, v26
	v_fmac_f32_e32 v16, v51, v15
	v_fma_f32 v15, v52, v17, -v121
	v_mul_f32_e32 v128, v89, v28
	v_fmac_f32_e32 v18, v53, v17
	v_fma_f32 v17, v54, v9, -v122
	v_mul_f32_e32 v32, v90, v32
	v_fma_f32 v48, v78, v19, -v10
	v_mul_f32_e32 v130, v93, v34
	v_mul_f32_e32 v34, v92, v34
	v_fma_f32 v51, v86, v25, -v127
	v_dual_fmac_f32 v120, v7, v49 :: v_dual_sub_f32 v7, v58, v30
	v_fma_f32 v50, v84, v23, -v126
	v_mul_f32_e32 v28, v88, v28
	v_fma_f32 v53, v90, v31, -v129
	v_fmac_f32_e32 v20, v79, v19
	v_fma_f32 v19, v80, v11, -v124
	v_fmac_f32_e32 v125, v81, v11
	;; [unrolled: 2-line block ×3, first 2 shown]
	v_fmac_f32_e32 v32, v91, v31
	v_fma_f32 v31, v92, v33, -v130
	v_fmac_f32_e32 v34, v93, v33
	v_fma_f32 v33, v106, v29, -v13
	v_dual_sub_f32 v9, v66, v38 :: v_dual_fmac_f32 v24, v85, v23
	v_dual_sub_f32 v11, v68, v39 :: v_dual_fmac_f32 v26, v87, v25
	v_sub_f32_e32 v13, v70, v15
	v_fma_f32 v52, v88, v27, -v128
	v_dual_sub_f32 v23, v94, v50 :: v_dual_fmac_f32 v28, v89, v27
	v_sub_f32_e32 v8, v59, v119
	v_dual_sub_f32 v19, v60, v19 :: v_dual_sub_f32 v6, v57, v14
	v_dual_sub_f32 v25, v96, v51 :: v_dual_sub_f32 v10, v67, v120
	;; [unrolled: 1-line block ×8, first 2 shown]
	v_sub_f32_e32 v14, v71, v18
	v_sub_f32_e32 v18, v75, v20
	;; [unrolled: 1-line block ×3, first 2 shown]
	v_dual_sub_f32 v32, v103, v34 :: v_dual_sub_f32 v33, v104, v33
	v_sub_f32_e32 v24, v95, v24
	v_sub_f32_e32 v34, v105, v37
	v_fma_f32 v36, v56, 2.0, -v5
	v_fma_f32 v37, v57, 2.0, -v6
	;; [unrolled: 1-line block ×30, first 2 shown]
	ds_store_2addr_stride64_b64 v108, v[7:8], v[9:10] offset0:9 offset1:11
	ds_store_2addr_stride64_b64 v62, v[36:37], v[38:39] offset1:2
	ds_store_2addr_b64 v35, v[48:49], v[5:6] offset1:224
	ds_store_b64 v0, v[50:51]
	ds_store_b64 v0, v[11:12] offset:3840
	ds_store_2addr_stride64_b64 v108, v[52:53], v[54:55] offset0:15 offset1:17
	ds_store_2addr_b64 v109, v[56:57], v[13:14] offset1:224
	ds_store_2addr_stride64_b64 v62, v[15:16], v[17:18] offset0:25 offset1:27
	ds_store_b64 v110, v[58:59]
	ds_store_b64 v110, v[19:20] offset:3840
	ds_store_b64 v111, v[60:61] offset:15360
	;; [unrolled: 1-line block ×7, first 2 shown]
	ds_store_b64 v113, v[70:71]
	ds_store_b64 v113, v[27:28] offset:3840
	ds_store_b64 v114, v[72:73] offset:23040
	;; [unrolled: 1-line block ×7, first 2 shown]
	v_lshlrev_b64_e32 v[5:6], 3, v[43:44]
	global_wb scope:SCOPE_SE
	s_wait_dscnt 0x0
	s_barrier_signal -1
	s_barrier_wait -1
	global_inv scope:SCOPE_SE
	global_load_b64 v[60:61], v[1:2], off offset:7600
	v_add_co_u32 v5, s0, s8, v5
	s_wait_alu 0xf1ff
	v_add_co_ci_u32_e64 v6, s0, s9, v6, s0
	s_clause 0xd
	global_load_b64 v[73:74], v[3:4], off offset:8624
	global_load_b64 v[75:76], v[3:4], off offset:9648
	;; [unrolled: 1-line block ×14, first 2 shown]
	v_cmp_lt_u32_e64 s0, 0x3bf, v65
	v_lshlrev_b32_e32 v5, 3, v43
	s_wait_alu 0xf1ff
	s_delay_alu instid0(VALU_DEP_2) | instskip(NEXT) | instid1(VALU_DEP_1)
	v_cndmask_b32_e64 v0, 0, 0x3c00, s0
	v_add3_u32 v0, 0, v0, v5
	ds_load_2addr_stride64_b64 v[5:8], v62 offset0:30 offset1:32
	ds_load_2addr_stride64_b64 v[9:12], v62 offset0:34 offset1:36
	ds_load_2addr_stride64_b64 v[13:16], v62 offset1:2
	ds_load_2addr_stride64_b64 v[17:20], v62 offset0:4 offset1:6
	ds_load_2addr_stride64_b64 v[21:24], v62 offset0:8 offset1:10
	;; [unrolled: 1-line block ×11, first 2 shown]
	ds_load_b64 v[101:102], v63
	ds_load_b64 v[103:104], v62 offset:29696
	global_wb scope:SCOPE_SE
	s_wait_loadcnt_dscnt 0x0
	s_barrier_signal -1
	s_barrier_wait -1
	global_inv scope:SCOPE_SE
	v_mul_f32_e32 v109, v28, v82
	v_mul_f32_e32 v82, v27, v82
	;; [unrolled: 1-line block ×5, first 2 shown]
	v_dual_mul_f32 v115, v55, v92 :: v_dual_mul_f32 v114, v53, v94
	v_mul_f32_e32 v94, v52, v94
	v_mul_f32_e32 v92, v54, v92
	v_dual_mul_f32 v116, v66, v98 :: v_dual_mul_f32 v117, v68, v96
	v_mul_f32_e32 v98, v65, v98
	v_mul_f32_e32 v118, v104, v100
	v_dual_mul_f32 v105, v74, v8 :: v_dual_fmac_f32 v94, v53, v93
	v_dual_mul_f32 v74, v74, v7 :: v_dual_mul_f32 v107, v12, v78
	v_mul_f32_e32 v86, v35, v86
	v_mul_f32_e32 v96, v67, v96
	;; [unrolled: 1-line block ×3, first 2 shown]
	v_fma_f32 v5, v60, v5, -v43
	v_fmac_f32_e32 v61, v60, v6
	v_fma_f32 v35, v35, v85, -v111
	v_mul_f32_e32 v106, v76, v10
	v_fmac_f32_e32 v92, v55, v91
	v_mul_f32_e32 v76, v76, v9
	v_fma_f32 v60, v65, v97, -v116
	v_fma_f32 v65, v67, v95, -v117
	v_mul_f32_e32 v78, v11, v78
	v_mul_f32_e32 v110, v34, v84
	;; [unrolled: 1-line block ×4, first 2 shown]
	v_dual_mul_f32 v90, v37, v90 :: v_dual_mul_f32 v113, v40, v88
	v_mul_f32_e32 v88, v39, v88
	v_fmac_f32_e32 v98, v66, v97
	v_mul_f32_e32 v108, v26, v80
	v_fma_f32 v67, v103, v99, -v118
	v_mul_f32_e32 v80, v25, v80
	v_fma_f32 v7, v73, v7, -v105
	v_dual_sub_f32 v53, v51, v94 :: v_dual_fmac_f32 v74, v73, v8
	v_fma_f32 v11, v11, v77, -v107
	v_fmac_f32_e32 v86, v36, v85
	v_fmac_f32_e32 v96, v68, v95
	;; [unrolled: 1-line block ×3, first 2 shown]
	v_sub_f32_e32 v35, v101, v35
	v_fma_f32 v9, v75, v9, -v106
	v_dual_sub_f32 v55, v57, v92 :: v_dual_fmac_f32 v76, v75, v10
	v_sub_f32_e32 v65, v69, v65
	v_fmac_f32_e32 v78, v12, v77
	v_fma_f32 v27, v27, v81, -v109
	v_fmac_f32_e32 v82, v28, v81
	v_fma_f32 v33, v33, v83, -v110
	;; [unrolled: 2-line block ×5, first 2 shown]
	v_fma_f32 v54, v54, v91, -v115
	v_dual_sub_f32 v6, v14, v61 :: v_dual_sub_f32 v61, v59, v98
	v_fma_f32 v25, v25, v79, -v108
	v_sub_f32_e32 v67, v71, v67
	v_dual_fmac_f32 v80, v26, v79 :: v_dual_sub_f32 v5, v13, v5
	v_dual_sub_f32 v7, v15, v7 :: v_dual_sub_f32 v8, v16, v74
	v_dual_sub_f32 v9, v17, v9 :: v_dual_sub_f32 v10, v18, v76
	v_dual_sub_f32 v11, v19, v11 :: v_dual_sub_f32 v12, v20, v78
	v_sub_f32_e32 v36, v102, v86
	v_sub_f32_e32 v66, v70, v96
	v_dual_sub_f32 v68, v72, v100 :: v_dual_sub_f32 v25, v21, v25
	v_dual_sub_f32 v26, v22, v80 :: v_dual_sub_f32 v27, v23, v27
	;; [unrolled: 1-line block ×4, first 2 shown]
	v_sub_f32_e32 v38, v32, v90
	v_dual_sub_f32 v39, v48, v39 :: v_dual_sub_f32 v40, v49, v88
	v_sub_f32_e32 v52, v50, v43
	v_sub_f32_e32 v54, v56, v54
	;; [unrolled: 1-line block ×3, first 2 shown]
	v_fma_f32 v13, v13, 2.0, -v5
	v_fma_f32 v14, v14, 2.0, -v6
	;; [unrolled: 1-line block ×30, first 2 shown]
	ds_store_2addr_stride64_b64 v62, v[7:8], v[9:10] offset0:17 offset1:19
	ds_store_2addr_stride64_b64 v62, v[11:12], v[25:26] offset0:21 offset1:23
	;; [unrolled: 1-line block ×3, first 2 shown]
	ds_store_2addr_stride64_b64 v62, v[13:14], v[15:16] offset1:2
	ds_store_2addr_stride64_b64 v62, v[17:18], v[19:20] offset0:4 offset1:6
	ds_store_2addr_stride64_b64 v62, v[21:22], v[23:24] offset0:8 offset1:10
	;; [unrolled: 1-line block ×3, first 2 shown]
	ds_store_2addr_stride64_b64 v0, v[73:74], v[35:36] offset1:15
	ds_store_2addr_stride64_b64 v62, v[31:32], v[48:49] offset0:31 offset1:33
	ds_store_2addr_stride64_b64 v62, v[39:40], v[52:53] offset0:48 offset1:50
	;; [unrolled: 1-line block ×7, first 2 shown]
	global_wb scope:SCOPE_SE
	s_wait_dscnt 0x0
	s_barrier_signal -1
	s_barrier_wait -1
	global_inv scope:SCOPE_SE
	s_clause 0xe
	global_load_b64 v[60:61], v[1:2], off offset:15280
	global_load_b64 v[68:69], v[3:4], off offset:16304
	;; [unrolled: 1-line block ×7, first 2 shown]
	global_load_b64 v[80:81], v64, s[8:9] offset:15280
	global_load_b64 v[82:83], v[3:4], off offset:23472
	global_load_b64 v[84:85], v[3:4], off offset:24496
	;; [unrolled: 1-line block ×7, first 2 shown]
	ds_load_2addr_stride64_b64 v[0:3], v62 offset0:30 offset1:32
	ds_load_2addr_stride64_b64 v[4:7], v62 offset0:34 offset1:36
	ds_load_2addr_stride64_b64 v[8:11], v62 offset1:2
	ds_load_2addr_stride64_b64 v[12:15], v62 offset0:4 offset1:6
	ds_load_2addr_stride64_b64 v[16:19], v62 offset0:8 offset1:10
	;; [unrolled: 1-line block ×5, first 2 shown]
	ds_load_b64 v[96:97], v63
	ds_load_2addr_stride64_b64 v[32:35], v62 offset0:46 offset1:48
	ds_load_2addr_stride64_b64 v[36:39], v62 offset0:18 offset1:20
	;; [unrolled: 1-line block ×6, first 2 shown]
	ds_load_b64 v[98:99], v62 offset:29696
	global_wb scope:SCOPE_SE
	s_wait_loadcnt_dscnt 0x0
	s_barrier_signal -1
	s_barrier_wait -1
	global_inv scope:SCOPE_SE
	v_dual_mul_f32 v43, v61, v0 :: v_dual_mul_f32 v100, v71, v5
	v_mul_f32_e32 v71, v71, v4
	v_mul_f32_e32 v101, v7, v73
	v_dual_mul_f32 v73, v6, v73 :: v_dual_mul_f32 v102, v21, v75
	v_dual_mul_f32 v105, v31, v81 :: v_dual_mul_f32 v106, v33, v83
	v_mul_f32_e32 v83, v32, v83
	v_mul_f32_e32 v81, v30, v81
	v_mul_f32_e32 v75, v20, v75
	v_mul_f32_e32 v103, v23, v77
	v_mul_f32_e32 v77, v22, v77
	v_fmac_f32_e32 v83, v33, v82
	v_mul_f32_e32 v40, v61, v1
	v_mul_f32_e32 v61, v69, v3
	;; [unrolled: 1-line block ×4, first 2 shown]
	v_sub_f32_e32 v33, v27, v83
	v_mul_f32_e32 v79, v28, v79
	v_mul_f32_e32 v107, v35, v85
	v_dual_mul_f32 v85, v34, v85 :: v_dual_mul_f32 v108, v49, v87
	v_mul_f32_e32 v87, v48, v87
	v_mul_f32_e32 v109, v51, v89
	v_dual_mul_f32 v89, v50, v89 :: v_dual_mul_f32 v110, v57, v91
	v_mul_f32_e32 v91, v56, v91
	v_mul_f32_e32 v111, v59, v93
	;; [unrolled: 1-line block ×3, first 2 shown]
	v_fmac_f32_e32 v81, v31, v80
	v_mul_f32_e32 v112, v99, v95
	v_mul_f32_e32 v95, v98, v95
	v_fma_f32 v0, v60, v0, -v40
	v_fmac_f32_e32 v43, v60, v1
	v_sub_f32_e32 v31, v97, v81
	v_fma_f32 v2, v68, v2, -v61
	v_fmac_f32_e32 v69, v68, v3
	v_fma_f32 v4, v70, v4, -v100
	v_fmac_f32_e32 v71, v70, v5
	v_fma_f32 v6, v6, v72, -v101
	v_fmac_f32_e32 v73, v7, v72
	v_fma_f32 v20, v20, v74, -v102
	v_fmac_f32_e32 v75, v21, v74
	v_fma_f32 v22, v22, v76, -v103
	v_fmac_f32_e32 v77, v23, v76
	v_fma_f32 v28, v28, v78, -v104
	v_fmac_f32_e32 v79, v29, v78
	v_fma_f32 v30, v30, v80, -v105
	v_fma_f32 v32, v32, v82, -v106
	;; [unrolled: 1-line block ×3, first 2 shown]
	v_fmac_f32_e32 v85, v35, v84
	v_fma_f32 v40, v48, v86, -v108
	v_fmac_f32_e32 v87, v49, v86
	v_fma_f32 v50, v50, v88, -v109
	;; [unrolled: 2-line block ×5, first 2 shown]
	v_dual_fmac_f32 v95, v99, v94 :: v_dual_sub_f32 v0, v8, v0
	v_sub_f32_e32 v35, v37, v85
	v_dual_sub_f32 v1, v9, v43 :: v_dual_sub_f32 v2, v10, v2
	v_sub_f32_e32 v49, v39, v87
	v_dual_sub_f32 v3, v11, v69 :: v_dual_sub_f32 v4, v12, v4
	;; [unrolled: 2-line block ×6, first 2 shown]
	v_dual_sub_f32 v29, v25, v79 :: v_dual_sub_f32 v30, v96, v30
	v_sub_f32_e32 v32, v26, v32
	v_sub_f32_e32 v34, v36, v34
	;; [unrolled: 1-line block ×7, first 2 shown]
	v_fma_f32 v8, v8, 2.0, -v0
	v_fma_f32 v9, v9, 2.0, -v1
	;; [unrolled: 1-line block ×30, first 2 shown]
	ds_store_2addr_stride64_b64 v62, v[0:1], v[2:3] offset0:30 offset1:32
	ds_store_2addr_stride64_b64 v62, v[4:5], v[6:7] offset0:34 offset1:36
	;; [unrolled: 1-line block ×3, first 2 shown]
	ds_store_2addr_stride64_b64 v62, v[8:9], v[10:11] offset1:2
	ds_store_2addr_stride64_b64 v62, v[12:13], v[14:15] offset0:4 offset1:6
	ds_store_2addr_stride64_b64 v62, v[16:17], v[18:19] offset0:8 offset1:10
	ds_store_b64 v62, v[28:29] offset:21504
	ds_store_b64 v62, v[24:25] offset:6144
	ds_store_2addr_stride64_b64 v63, v[68:69], v[30:31] offset1:30
	ds_store_2addr_stride64_b64 v62, v[26:27], v[36:37] offset0:16 offset1:18
	ds_store_2addr_stride64_b64 v62, v[32:33], v[34:35] offset0:46 offset1:48
	;; [unrolled: 1-line block ×6, first 2 shown]
	ds_store_b64 v62, v[66:67] offset:14336
	ds_store_b64 v62, v[60:61] offset:29696
	global_wb scope:SCOPE_SE
	s_wait_dscnt 0x0
	s_barrier_signal -1
	s_barrier_wait -1
	global_inv scope:SCOPE_SE
	s_and_saveexec_b32 s0, vcc_lo
	s_cbranch_execz .LBB0_21
; %bb.20:
	v_mul_lo_u32 v0, s3, v46
	v_mul_lo_u32 v1, s2, v47
	v_mad_co_u64_u32 v[4:5], null, s2, v46, 0
	v_dual_mov_b32 v46, v44 :: v_dual_add_nc_u32 v43, 0x80, v45
	v_lshlrev_b64_e32 v[8:9], 3, v[41:42]
	v_lshl_add_u32 v20, v45, 3, 0
	s_delay_alu instid0(VALU_DEP_3)
	v_lshlrev_b64_e32 v[12:13], 3, v[45:46]
	v_add3_u32 v5, v5, v1, v0
	v_lshlrev_b64_e32 v[14:15], 3, v[43:44]
	ds_load_2addr_stride64_b64 v[0:3], v20 offset1:2
	v_add_nc_u32_e32 v43, 0x100, v45
	v_lshlrev_b64_e32 v[10:11], 3, v[4:5]
	ds_load_2addr_stride64_b64 v[4:7], v20 offset0:4 offset1:6
	v_add_co_u32 v16, vcc_lo, s6, v10
	s_wait_alu 0xfffd
	v_add_co_ci_u32_e32 v17, vcc_lo, s7, v11, vcc_lo
	v_lshlrev_b64_e32 v[10:11], 3, v[43:44]
	s_delay_alu instid0(VALU_DEP_3) | instskip(SKIP_1) | instid1(VALU_DEP_3)
	v_add_co_u32 v24, vcc_lo, v16, v8
	s_wait_alu 0xfffd
	v_add_co_ci_u32_e32 v25, vcc_lo, v17, v9, vcc_lo
	v_add_nc_u32_e32 v43, 0x180, v45
	s_delay_alu instid0(VALU_DEP_3) | instskip(SKIP_1) | instid1(VALU_DEP_3)
	v_add_co_u32 v8, vcc_lo, v24, v12
	s_wait_alu 0xfffd
	v_add_co_ci_u32_e32 v9, vcc_lo, v25, v13, vcc_lo
	v_add_co_u32 v12, vcc_lo, v24, v14
	s_wait_alu 0xfffd
	v_add_co_ci_u32_e32 v13, vcc_lo, v25, v15, vcc_lo
	v_lshlrev_b64_e32 v[14:15], 3, v[43:44]
	v_add_nc_u32_e32 v43, 0x200, v45
	v_add_co_u32 v10, vcc_lo, v24, v10
	s_wait_alu 0xfffd
	v_add_co_ci_u32_e32 v11, vcc_lo, v25, v11, vcc_lo
	s_delay_alu instid0(VALU_DEP_4)
	v_add_co_u32 v14, vcc_lo, v24, v14
	v_lshlrev_b64_e32 v[16:17], 3, v[43:44]
	v_add_nc_u32_e32 v43, 0x280, v45
	s_wait_alu 0xfffd
	v_add_co_ci_u32_e32 v15, vcc_lo, v25, v15, vcc_lo
	s_wait_dscnt 0x1
	s_clause 0x1
	global_store_b64 v[8:9], v[0:1], off
	global_store_b64 v[12:13], v[2:3], off
	s_wait_dscnt 0x0
	s_clause 0x1
	global_store_b64 v[10:11], v[4:5], off
	global_store_b64 v[14:15], v[6:7], off
	ds_load_2addr_stride64_b64 v[0:3], v20 offset0:8 offset1:10
	v_lshlrev_b64_e32 v[8:9], 3, v[43:44]
	v_add_nc_u32_e32 v43, 0x300, v45
	ds_load_2addr_stride64_b64 v[4:7], v20 offset0:12 offset1:14
	v_add_co_u32 v10, vcc_lo, v24, v16
	s_wait_alu 0xfffd
	v_add_co_ci_u32_e32 v11, vcc_lo, v25, v17, vcc_lo
	v_lshlrev_b64_e32 v[12:13], 3, v[43:44]
	v_add_nc_u32_e32 v43, 0x380, v45
	v_add_co_u32 v8, vcc_lo, v24, v8
	s_wait_alu 0xfffd
	v_add_co_ci_u32_e32 v9, vcc_lo, v25, v9, vcc_lo
	s_delay_alu instid0(VALU_DEP_3) | instskip(SKIP_4) | instid1(VALU_DEP_4)
	v_lshlrev_b64_e32 v[14:15], 3, v[43:44]
	v_add_nc_u32_e32 v43, 0x400, v45
	v_add_co_u32 v12, vcc_lo, v24, v12
	s_wait_alu 0xfffd
	v_add_co_ci_u32_e32 v13, vcc_lo, v25, v13, vcc_lo
	v_add_co_u32 v14, vcc_lo, v24, v14
	v_lshlrev_b64_e32 v[16:17], 3, v[43:44]
	v_add_nc_u32_e32 v43, 0x480, v45
	s_wait_alu 0xfffd
	v_add_co_ci_u32_e32 v15, vcc_lo, v25, v15, vcc_lo
	s_wait_dscnt 0x1
	s_clause 0x1
	global_store_b64 v[10:11], v[0:1], off
	global_store_b64 v[8:9], v[2:3], off
	s_wait_dscnt 0x0
	s_clause 0x1
	global_store_b64 v[12:13], v[4:5], off
	global_store_b64 v[14:15], v[6:7], off
	ds_load_2addr_stride64_b64 v[0:3], v20 offset0:16 offset1:18
	v_lshlrev_b64_e32 v[8:9], 3, v[43:44]
	v_add_nc_u32_e32 v43, 0x500, v45
	ds_load_2addr_stride64_b64 v[4:7], v20 offset0:20 offset1:22
	v_add_co_u32 v10, vcc_lo, v24, v16
	s_wait_alu 0xfffd
	v_add_co_ci_u32_e32 v11, vcc_lo, v25, v17, vcc_lo
	v_lshlrev_b64_e32 v[12:13], 3, v[43:44]
	v_add_nc_u32_e32 v43, 0x580, v45
	v_add_co_u32 v8, vcc_lo, v24, v8
	s_wait_alu 0xfffd
	v_add_co_ci_u32_e32 v9, vcc_lo, v25, v9, vcc_lo
	s_delay_alu instid0(VALU_DEP_3) | instskip(SKIP_4) | instid1(VALU_DEP_4)
	v_lshlrev_b64_e32 v[14:15], 3, v[43:44]
	v_add_nc_u32_e32 v43, 0x600, v45
	v_add_co_u32 v12, vcc_lo, v24, v12
	s_wait_alu 0xfffd
	v_add_co_ci_u32_e32 v13, vcc_lo, v25, v13, vcc_lo
	v_add_co_u32 v14, vcc_lo, v24, v14
	v_lshlrev_b64_e32 v[16:17], 3, v[43:44]
	v_add_nc_u32_e32 v43, 0x680, v45
	s_wait_alu 0xfffd
	v_add_co_ci_u32_e32 v15, vcc_lo, v25, v15, vcc_lo
	s_wait_dscnt 0x1
	s_clause 0x1
	global_store_b64 v[10:11], v[0:1], off
	global_store_b64 v[8:9], v[2:3], off
	s_wait_dscnt 0x0
	s_clause 0x1
	global_store_b64 v[12:13], v[4:5], off
	global_store_b64 v[14:15], v[6:7], off
	ds_load_2addr_stride64_b64 v[0:3], v20 offset0:24 offset1:26
	v_lshlrev_b64_e32 v[8:9], 3, v[43:44]
	v_add_nc_u32_e32 v43, 0x700, v45
	ds_load_2addr_stride64_b64 v[4:7], v20 offset0:28 offset1:30
	v_add_co_u32 v10, vcc_lo, v24, v16
	s_wait_alu 0xfffd
	v_add_co_ci_u32_e32 v11, vcc_lo, v25, v17, vcc_lo
	v_lshlrev_b64_e32 v[12:13], 3, v[43:44]
	v_add_nc_u32_e32 v43, 0x780, v45
	v_add_co_u32 v8, vcc_lo, v24, v8
	s_wait_alu 0xfffd
	v_add_co_ci_u32_e32 v9, vcc_lo, v25, v9, vcc_lo
	s_delay_alu instid0(VALU_DEP_3) | instskip(SKIP_4) | instid1(VALU_DEP_4)
	v_lshlrev_b64_e32 v[14:15], 3, v[43:44]
	v_add_nc_u32_e32 v43, 0x800, v45
	v_add_co_u32 v12, vcc_lo, v24, v12
	s_wait_alu 0xfffd
	v_add_co_ci_u32_e32 v13, vcc_lo, v25, v13, vcc_lo
	v_add_co_u32 v14, vcc_lo, v24, v14
	v_lshlrev_b64_e32 v[16:17], 3, v[43:44]
	v_add_nc_u32_e32 v43, 0x880, v45
	s_wait_alu 0xfffd
	v_add_co_ci_u32_e32 v15, vcc_lo, v25, v15, vcc_lo
	s_wait_dscnt 0x1
	s_clause 0x1
	global_store_b64 v[10:11], v[0:1], off
	global_store_b64 v[8:9], v[2:3], off
	s_wait_dscnt 0x0
	s_clause 0x1
	global_store_b64 v[12:13], v[4:5], off
	global_store_b64 v[14:15], v[6:7], off
	ds_load_2addr_stride64_b64 v[0:3], v20 offset0:32 offset1:34
	v_lshlrev_b64_e32 v[8:9], 3, v[43:44]
	v_add_nc_u32_e32 v43, 0x900, v45
	ds_load_2addr_stride64_b64 v[4:7], v20 offset0:36 offset1:38
	v_add_co_u32 v10, vcc_lo, v24, v16
	s_wait_alu 0xfffd
	v_add_co_ci_u32_e32 v11, vcc_lo, v25, v17, vcc_lo
	v_lshlrev_b64_e32 v[12:13], 3, v[43:44]
	v_add_nc_u32_e32 v43, 0x980, v45
	v_add_co_u32 v8, vcc_lo, v24, v8
	s_wait_alu 0xfffd
	v_add_co_ci_u32_e32 v9, vcc_lo, v25, v9, vcc_lo
	s_delay_alu instid0(VALU_DEP_3) | instskip(SKIP_4) | instid1(VALU_DEP_4)
	v_lshlrev_b64_e32 v[14:15], 3, v[43:44]
	v_add_nc_u32_e32 v43, 0xa00, v45
	v_add_co_u32 v12, vcc_lo, v24, v12
	s_wait_alu 0xfffd
	v_add_co_ci_u32_e32 v13, vcc_lo, v25, v13, vcc_lo
	v_add_co_u32 v14, vcc_lo, v24, v14
	v_lshlrev_b64_e32 v[16:17], 3, v[43:44]
	v_add_nc_u32_e32 v43, 0xa80, v45
	s_wait_alu 0xfffd
	v_add_co_ci_u32_e32 v15, vcc_lo, v25, v15, vcc_lo
	s_wait_dscnt 0x1
	s_clause 0x1
	global_store_b64 v[10:11], v[0:1], off
	global_store_b64 v[8:9], v[2:3], off
	s_wait_dscnt 0x0
	s_clause 0x1
	global_store_b64 v[12:13], v[4:5], off
	global_store_b64 v[14:15], v[6:7], off
	ds_load_2addr_stride64_b64 v[0:3], v20 offset0:40 offset1:42
	v_lshlrev_b64_e32 v[8:9], 3, v[43:44]
	v_add_nc_u32_e32 v43, 0xb00, v45
	ds_load_2addr_stride64_b64 v[4:7], v20 offset0:44 offset1:46
	v_add_co_u32 v10, vcc_lo, v24, v16
	s_wait_alu 0xfffd
	v_add_co_ci_u32_e32 v11, vcc_lo, v25, v17, vcc_lo
	v_lshlrev_b64_e32 v[12:13], 3, v[43:44]
	v_add_nc_u32_e32 v43, 0xb80, v45
	v_add_co_u32 v8, vcc_lo, v24, v8
	s_wait_alu 0xfffd
	v_add_co_ci_u32_e32 v9, vcc_lo, v25, v9, vcc_lo
	s_delay_alu instid0(VALU_DEP_3) | instskip(SKIP_4) | instid1(VALU_DEP_3)
	v_lshlrev_b64_e32 v[14:15], 3, v[43:44]
	v_add_nc_u32_e32 v43, 0xc00, v45
	v_add_co_u32 v12, vcc_lo, v24, v12
	s_wait_alu 0xfffd
	v_add_co_ci_u32_e32 v13, vcc_lo, v25, v13, vcc_lo
	v_lshlrev_b64_e32 v[16:17], 3, v[43:44]
	v_add_nc_u32_e32 v43, 0xc80, v45
	v_add_co_u32 v14, vcc_lo, v24, v14
	s_wait_alu 0xfffd
	v_add_co_ci_u32_e32 v15, vcc_lo, v25, v15, vcc_lo
	s_wait_dscnt 0x1
	s_clause 0x1
	global_store_b64 v[10:11], v[0:1], off
	global_store_b64 v[8:9], v[2:3], off
	s_wait_dscnt 0x0
	s_clause 0x1
	global_store_b64 v[12:13], v[4:5], off
	global_store_b64 v[14:15], v[6:7], off
	v_lshlrev_b64_e32 v[4:5], 3, v[43:44]
	v_add_nc_u32_e32 v43, 0xd00, v45
	v_add_co_u32 v12, vcc_lo, v24, v16
	s_wait_alu 0xfffd
	v_add_co_ci_u32_e32 v13, vcc_lo, v25, v17, vcc_lo
	s_delay_alu instid0(VALU_DEP_3)
	v_lshlrev_b64_e32 v[8:9], 3, v[43:44]
	v_add_nc_u32_e32 v43, 0xd80, v45
	v_add_co_u32 v14, vcc_lo, v24, v4
	ds_load_2addr_stride64_b64 v[0:3], v20 offset0:48 offset1:50
	s_wait_alu 0xfffd
	v_add_co_ci_u32_e32 v15, vcc_lo, v25, v5, vcc_lo
	ds_load_2addr_stride64_b64 v[4:7], v20 offset0:52 offset1:54
	v_lshlrev_b64_e32 v[16:17], 3, v[43:44]
	v_add_nc_u32_e32 v43, 0xe00, v45
	v_add_co_u32 v18, vcc_lo, v24, v8
	s_wait_alu 0xfffd
	v_add_co_ci_u32_e32 v19, vcc_lo, v25, v9, vcc_lo
	ds_load_2addr_stride64_b64 v[8:11], v20 offset0:56 offset1:58
	v_lshlrev_b64_e32 v[20:21], 3, v[43:44]
	v_add_nc_u32_e32 v43, 0xe80, v45
	v_add_co_u32 v16, vcc_lo, v24, v16
	s_wait_alu 0xfffd
	v_add_co_ci_u32_e32 v17, vcc_lo, v25, v17, vcc_lo
	s_delay_alu instid0(VALU_DEP_3) | instskip(SKIP_3) | instid1(VALU_DEP_3)
	v_lshlrev_b64_e32 v[22:23], 3, v[43:44]
	v_add_co_u32 v20, vcc_lo, v24, v20
	s_wait_alu 0xfffd
	v_add_co_ci_u32_e32 v21, vcc_lo, v25, v21, vcc_lo
	v_add_co_u32 v22, vcc_lo, v24, v22
	s_wait_alu 0xfffd
	v_add_co_ci_u32_e32 v23, vcc_lo, v25, v23, vcc_lo
	s_wait_dscnt 0x2
	s_clause 0x1
	global_store_b64 v[12:13], v[0:1], off
	global_store_b64 v[14:15], v[2:3], off
	s_wait_dscnt 0x1
	s_clause 0x1
	global_store_b64 v[18:19], v[4:5], off
	global_store_b64 v[16:17], v[6:7], off
	;; [unrolled: 4-line block ×3, first 2 shown]
.LBB0_21:
	s_nop 0
	s_sendmsg sendmsg(MSG_DEALLOC_VGPRS)
	s_endpgm
	.section	.rodata,"a",@progbits
	.p2align	6, 0x0
	.amdhsa_kernel fft_rtc_fwd_len3840_factors_10_6_2_2_2_2_2_2_wgs_128_tpt_128_halfLds_sp_op_CI_CI_unitstride_sbrr_C2R_dirReg
		.amdhsa_group_segment_fixed_size 0
		.amdhsa_private_segment_fixed_size 0
		.amdhsa_kernarg_size 104
		.amdhsa_user_sgpr_count 2
		.amdhsa_user_sgpr_dispatch_ptr 0
		.amdhsa_user_sgpr_queue_ptr 0
		.amdhsa_user_sgpr_kernarg_segment_ptr 1
		.amdhsa_user_sgpr_dispatch_id 0
		.amdhsa_user_sgpr_private_segment_size 0
		.amdhsa_wavefront_size32 1
		.amdhsa_uses_dynamic_stack 0
		.amdhsa_enable_private_segment 0
		.amdhsa_system_sgpr_workgroup_id_x 1
		.amdhsa_system_sgpr_workgroup_id_y 0
		.amdhsa_system_sgpr_workgroup_id_z 0
		.amdhsa_system_sgpr_workgroup_info 0
		.amdhsa_system_vgpr_workitem_id 0
		.amdhsa_next_free_vgpr 158
		.amdhsa_next_free_sgpr 39
		.amdhsa_reserve_vcc 1
		.amdhsa_float_round_mode_32 0
		.amdhsa_float_round_mode_16_64 0
		.amdhsa_float_denorm_mode_32 3
		.amdhsa_float_denorm_mode_16_64 3
		.amdhsa_fp16_overflow 0
		.amdhsa_workgroup_processor_mode 1
		.amdhsa_memory_ordered 1
		.amdhsa_forward_progress 0
		.amdhsa_round_robin_scheduling 0
		.amdhsa_exception_fp_ieee_invalid_op 0
		.amdhsa_exception_fp_denorm_src 0
		.amdhsa_exception_fp_ieee_div_zero 0
		.amdhsa_exception_fp_ieee_overflow 0
		.amdhsa_exception_fp_ieee_underflow 0
		.amdhsa_exception_fp_ieee_inexact 0
		.amdhsa_exception_int_div_zero 0
	.end_amdhsa_kernel
	.text
.Lfunc_end0:
	.size	fft_rtc_fwd_len3840_factors_10_6_2_2_2_2_2_2_wgs_128_tpt_128_halfLds_sp_op_CI_CI_unitstride_sbrr_C2R_dirReg, .Lfunc_end0-fft_rtc_fwd_len3840_factors_10_6_2_2_2_2_2_2_wgs_128_tpt_128_halfLds_sp_op_CI_CI_unitstride_sbrr_C2R_dirReg
                                        ; -- End function
	.section	.AMDGPU.csdata,"",@progbits
; Kernel info:
; codeLenInByte = 22356
; NumSgprs: 41
; NumVgprs: 158
; ScratchSize: 0
; MemoryBound: 0
; FloatMode: 240
; IeeeMode: 1
; LDSByteSize: 0 bytes/workgroup (compile time only)
; SGPRBlocks: 5
; VGPRBlocks: 19
; NumSGPRsForWavesPerEU: 41
; NumVGPRsForWavesPerEU: 158
; Occupancy: 9
; WaveLimiterHint : 1
; COMPUTE_PGM_RSRC2:SCRATCH_EN: 0
; COMPUTE_PGM_RSRC2:USER_SGPR: 2
; COMPUTE_PGM_RSRC2:TRAP_HANDLER: 0
; COMPUTE_PGM_RSRC2:TGID_X_EN: 1
; COMPUTE_PGM_RSRC2:TGID_Y_EN: 0
; COMPUTE_PGM_RSRC2:TGID_Z_EN: 0
; COMPUTE_PGM_RSRC2:TIDIG_COMP_CNT: 0
	.text
	.p2alignl 7, 3214868480
	.fill 96, 4, 3214868480
	.type	__hip_cuid_35a5438d56520279,@object ; @__hip_cuid_35a5438d56520279
	.section	.bss,"aw",@nobits
	.globl	__hip_cuid_35a5438d56520279
__hip_cuid_35a5438d56520279:
	.byte	0                               ; 0x0
	.size	__hip_cuid_35a5438d56520279, 1

	.ident	"AMD clang version 19.0.0git (https://github.com/RadeonOpenCompute/llvm-project roc-6.4.0 25133 c7fe45cf4b819c5991fe208aaa96edf142730f1d)"
	.section	".note.GNU-stack","",@progbits
	.addrsig
	.addrsig_sym __hip_cuid_35a5438d56520279
	.amdgpu_metadata
---
amdhsa.kernels:
  - .args:
      - .actual_access:  read_only
        .address_space:  global
        .offset:         0
        .size:           8
        .value_kind:     global_buffer
      - .offset:         8
        .size:           8
        .value_kind:     by_value
      - .actual_access:  read_only
        .address_space:  global
        .offset:         16
        .size:           8
        .value_kind:     global_buffer
      - .actual_access:  read_only
        .address_space:  global
        .offset:         24
        .size:           8
        .value_kind:     global_buffer
      - .actual_access:  read_only
        .address_space:  global
        .offset:         32
        .size:           8
        .value_kind:     global_buffer
      - .offset:         40
        .size:           8
        .value_kind:     by_value
      - .actual_access:  read_only
        .address_space:  global
        .offset:         48
        .size:           8
        .value_kind:     global_buffer
      - .actual_access:  read_only
        .address_space:  global
        .offset:         56
        .size:           8
        .value_kind:     global_buffer
      - .offset:         64
        .size:           4
        .value_kind:     by_value
      - .actual_access:  read_only
        .address_space:  global
        .offset:         72
        .size:           8
        .value_kind:     global_buffer
      - .actual_access:  read_only
        .address_space:  global
        .offset:         80
        .size:           8
        .value_kind:     global_buffer
      - .actual_access:  read_only
        .address_space:  global
        .offset:         88
        .size:           8
        .value_kind:     global_buffer
      - .actual_access:  write_only
        .address_space:  global
        .offset:         96
        .size:           8
        .value_kind:     global_buffer
    .group_segment_fixed_size: 0
    .kernarg_segment_align: 8
    .kernarg_segment_size: 104
    .language:       OpenCL C
    .language_version:
      - 2
      - 0
    .max_flat_workgroup_size: 128
    .name:           fft_rtc_fwd_len3840_factors_10_6_2_2_2_2_2_2_wgs_128_tpt_128_halfLds_sp_op_CI_CI_unitstride_sbrr_C2R_dirReg
    .private_segment_fixed_size: 0
    .sgpr_count:     41
    .sgpr_spill_count: 0
    .symbol:         fft_rtc_fwd_len3840_factors_10_6_2_2_2_2_2_2_wgs_128_tpt_128_halfLds_sp_op_CI_CI_unitstride_sbrr_C2R_dirReg.kd
    .uniform_work_group_size: 1
    .uses_dynamic_stack: false
    .vgpr_count:     158
    .vgpr_spill_count: 0
    .wavefront_size: 32
    .workgroup_processor_mode: 1
amdhsa.target:   amdgcn-amd-amdhsa--gfx1201
amdhsa.version:
  - 1
  - 2
...

	.end_amdgpu_metadata
